;; amdgpu-corpus repo=ROCm/aiter kind=harvested arch=n/a opt=n/a

/root/src/amdgpu-assembly/repos/ROCm__aiter/hsa/gfx950/fmoe/silu/fmoe_bf16_pertokenMXfp4_g1u1_novs_silu_1tg_32x512.co:	file format elf64-amdgpu

Disassembly of section .text:

0000000000002e00 <_ZN5aiter49fmoe_bf16_pertokenMXfp4_g1u1_novs_silu_1tg_32x512E>:
	s_and_b32 s1, s1, 0xffff                                   // 000000002E00: 8601FF01 0000FFFF
	s_load_dwordx2 s[8:9], s[0:1], 0x0                         // 000000002E08: C0060200 00000000
	s_load_dwordx2 s[20:21], s[0:1], 0x10                      // 000000002E10: C0060500 00000010
	s_load_dwordx2 s[24:25], s[0:1], 0x20                      // 000000002E18: C0060600 00000020
	s_load_dwordx2 s[50:51], s[0:1], 0x30                      // 000000002E20: C0060C80 00000030
	s_load_dwordx2 s[12:13], s[0:1], 0x40                      // 000000002E28: C0060300 00000040
	s_load_dwordx2 s[28:29], s[0:1], 0x50                      // 000000002E30: C0060700 00000050
	s_load_dwordx2 s[32:33], s[0:1], 0x60                      // 000000002E38: C0060800 00000060
	s_load_dwordx2 s[16:17], s[0:1], 0x70                      // 000000002E40: C0060400 00000070
	s_load_dwordx2 s[36:37], s[0:1], 0x80                      // 000000002E48: C0060900 00000080
	s_load_dwordx2 s[44:45], s[0:1], 0x90                      // 000000002E50: C0060B00 00000090
	s_load_dwordx2 s[40:41], s[0:1], 0xa0                      // 000000002E58: C0060A00 000000A0
	s_load_dwordx2 s[46:47], s[0:1], 0xb0                      // 000000002E60: C0060B80 000000B0
	s_load_dword s64, s[0:1], 0xc0                             // 000000002E68: C0021000 000000C0
	s_load_dword s65, s[0:1], 0xd0                             // 000000002E70: C0021040 000000D0
	s_load_dword s66, s[0:1], 0xe0                             // 000000002E78: C0021080 000000E0
	s_load_dword s67, s[0:1], 0xf0                             // 000000002E80: C00210C0 000000F0
	s_load_dword s68, s[0:1], 0x100                            // 000000002E88: C0021100 00000100
	s_load_dword s69, s[0:1], 0x110                            // 000000002E90: C0021140 00000110
	s_load_dword s70, s[0:1], 0x120                            // 000000002E98: C0021180 00000120
	s_load_dword s71, s[0:1], 0x130                            // 000000002EA0: C00211C0 00000130
	s_load_dword s72, s[0:1], 0x140                            // 000000002EA8: C0021200 00000140
	s_load_dword s73, s[0:1], 0x150                            // 000000002EB0: C0021240 00000150
	s_load_dword s74, s[0:1], 0x160                            // 000000002EB8: C0021280 00000160
	s_load_dword s75, s[0:1], 0x170                            // 000000002EC0: C00212C0 00000170
	s_load_dword s76, s[0:1], 0x180                            // 000000002EC8: C0021300 00000180
	v_lshrrev_b32_e32 v1, 10, v0                               // 000000002ED0: 2002008A
	v_lshrrev_b32_e32 v2, 10, v1                               // 000000002ED4: 2004028A
	v_and_b32_e32 v2, 0x3ff, v2                                // 000000002ED8: 260404FF 000003FF
	v_and_b32_e32 v1, 0x3ff, v1                                // 000000002EE0: 260202FF 000003FF
	v_and_b32_e32 v0, 0x3ff, v0                                // 000000002EE8: 260000FF 000003FF
	v_lshrrev_b32_e32 v3, 6, v0                                // 000000002EF0: 20060086
	v_and_b32_e32 v0, 63, v0                                   // 000000002EF4: 260000BF
	s_mov_b32 s2, s2                                           // 000000002EF8: BE820002
	s_mov_b32 s3, s3                                           // 000000002EFC: BE830003
	s_mov_b32 s4, s4                                           // 000000002F00: BE840004
	v_readfirstlane_b32 s7, v3                                 // 000000002F04: 7E0E0503
	s_waitcnt lgkmcnt(0)                                       // 000000002F08: BF8CC07F
	s_and_b32 s51, s51, 0xffff                                 // 000000002F0C: 8633FF33 0000FFFF
	s_load_dword s50, s[50:51], 0x0                            // 000000002F14: C0020C99 00000000
	s_and_b32 s45, s45, 0xffff                                 // 000000002F1C: 862DFF2D 0000FFFF
	s_and_b32 s47, s47, 0xffff                                 // 000000002F24: 862FFF2F 0000FFFF
	s_and_b32 s9, s9, 0xffff                                   // 000000002F2C: 8609FF09 0000FFFF
	s_mul_i32 s60, s66, s68                                    // 000000002F34: 923C4442
	s_mov_b32 s22, s60                                         // 000000002F38: BE96003C
	s_mov_b32 s26, -16                                         // 000000002F3C: BE9A00D0
	s_mov_b32 s14, -16                                         // 000000002F40: BE8E00D0
	s_mov_b32 s42, -16                                         // 000000002F44: BEAA00D0
	s_mov_b32 s30, -16                                         // 000000002F48: BE9E00D0
	s_mov_b32 s34, -16                                         // 000000002F4C: BEA200D0
	s_mov_b32 s38, -16                                         // 000000002F50: BEA600D0
	s_mov_b32 s18, -16                                         // 000000002F54: BE9200D0
	s_mul_i32 s60, s66, s71                                    // 000000002F58: 923C4742
	s_mov_b32 s10, s60                                         // 000000002F5C: BE8A003C
	s_mov_b32 s23, 0x20000                                     // 000000002F60: BE9700FF 00020000
	s_mov_b32 s27, 0x20000                                     // 000000002F68: BE9B00FF 00020000
	s_mov_b32 s15, 0x20000                                     // 000000002F70: BE8F00FF 00020000
	s_mov_b32 s43, 0x20000                                     // 000000002F78: BEAB00FF 00020000
	s_mov_b32 s31, 0x20000                                     // 000000002F80: BE9F00FF 00020000
	s_mov_b32 s35, 0x20000                                     // 000000002F88: BEA300FF 00020000
	s_mov_b32 s39, 0x20000                                     // 000000002F90: BEA700FF 00020000
	s_mov_b32 s19, 0x20000                                     // 000000002F98: BE9300FF 00020000
	s_mov_b32 s11, 0x20000                                     // 000000002FA0: BE8B00FF 00020000
	s_and_b32 s21, s21, 0xffff                                 // 000000002FA8: 8615FF15 0000FFFF
	s_and_b32 s25, s25, 0xffff                                 // 000000002FB0: 8619FF19 0000FFFF
	s_and_b32 s13, s13, 0xffff                                 // 000000002FB8: 860DFF0D 0000FFFF
	s_and_b32 s41, s41, 0xffff                                 // 000000002FC0: 8629FF29 0000FFFF
	s_and_b32 s29, s29, 0xffff                                 // 000000002FC8: 861DFF1D 0000FFFF
	s_and_b32 s33, s33, 0xffff                                 // 000000002FD0: 8621FF21 0000FFFF
	s_and_b32 s37, s37, 0xffff                                 // 000000002FD8: 8625FF25 0000FFFF
	s_and_b32 s17, s17, 0xffff                                 // 000000002FE0: 8611FF11 0000FFFF
	s_or_b32 s21, s21, 0x40000                                 // 000000002FE8: 8715FF15 00040000
	s_or_b32 s25, s25, 0x40000                                 // 000000002FF0: 8719FF19 00040000
	s_or_b32 s13, s13, 0x40000                                 // 000000002FF8: 870DFF0D 00040000
	s_or_b32 s41, s41, 0x40000                                 // 000000003000: 8729FF29 00040000
	s_or_b32 s29, s29, 0x40000                                 // 000000003008: 871DFF1D 00040000
	s_or_b32 s33, s33, 0x40000                                 // 000000003010: 8721FF21 00040000
	s_or_b32 s37, s37, 0x40000                                 // 000000003018: 8725FF25 00040000
	s_or_b32 s17, s17, 0x40000                                 // 000000003020: 8711FF11 00040000
	v_accvgpr_write_b32 a127, 0                                // 000000003028: D3D9407F 18000080
	v_mov_b32_e32 v223, 0                                      // 000000003030: 7FBE0280
	s_waitcnt lgkmcnt(0)                                       // 000000003034: BF8CC07F
	s_mul_i32 s60, s3, 32                                      // 000000003038: 923CA003
	s_cmp_lt_i32 s60, s50                                      // 00000000303C: BF04323C
	s_cbranch_scc0 label_1AAE                                  // 000000003040: BF841A1D
	s_mov_b32 s80, 0                                           // 000000003044: BED00080
	s_mov_b32 s81, s64                                         // 000000003048: BED10040
	s_mul_i32 s60, s3, 4                                       // 00000000304C: 923C8403
	s_add_u32 s46, s60, s46                                    // 000000003050: 802E2E3C
	s_addc_u32 s47, 0, s47                                     // 000000003054: 822F2F80
	s_load_dword s5, s[46:47], 0x0                             // 000000003058: C0020157 00000000
	s_mul_i32 s60, s3, 32                                      // 000000003060: 923CA003
	s_lshr_b32 s61, s7, 1                                      // 000000003064: 8F3D8107
	s_mul_i32 s61, s61, 8                                      // 000000003068: 923D883D
	s_add_u32 s60, s61, s60                                    // 00000000306C: 803C3C3D
	s_and_b32 s61, s7, 1                                       // 000000003070: 863D8107
	s_mul_i32 s61, s61, 2                                      // 000000003074: 923D823D
	s_add_u32 s60, s61, s60                                    // 000000003078: 803C3C3D
	s_mul_i32 s60, 4, s60                                      // 00000000307C: 923C3C84
	s_add_u32 s44, s60, s44                                    // 000000003080: 802C2C3C
	s_addc_u32 s45, 0, s45                                     // 000000003084: 822D2D80
	s_load_dword s82, s[44:45], 0x0                            // 000000003088: C0021496 00000000
	s_load_dword s83, s[44:45], 0x4                            // 000000003090: C00214D6 00000004
	s_load_dword s84, s[44:45], 0x10                           // 000000003098: C0021516 00000010
	s_load_dword s85, s[44:45], 0x14                           // 0000000030A0: C0021556 00000014
	s_load_dword s86, s[44:45], 0x40                           // 0000000030A8: C0021596 00000040
	s_load_dword s87, s[44:45], 0x44                           // 0000000030B0: C00215D6 00000044
	s_load_dword s88, s[44:45], 0x50                           // 0000000030B8: C0021616 00000050
	s_load_dword s89, s[44:45], 0x54                           // 0000000030C0: C0021656 00000054
	s_waitcnt lgkmcnt(0)                                       // 0000000030C8: BF8CC07F
	s_and_b32 s82, s82, 0xffffff                               // 0000000030CC: 8652FF52 00FFFFFF
	s_mul_i32 s62, s82, s68                                    // 0000000030D4: 923E4452
	s_lshl_b32 s60, 0xff, 0                                    // 0000000030D8: 8E3C80FF 000000FF
	s_mov_b32 s61, 0                                           // 0000000030E0: BEBD0080
	s_mov_b64 exec, s[60:61]                                   // 0000000030E4: BEFE013C
	v_mov_b32_e32 v51, s62                                     // 0000000030E8: 7E66023E
	s_and_b32 s83, s83, 0xffffff                               // 0000000030EC: 8653FF53 00FFFFFF
	s_mul_i32 s62, s83, s68                                    // 0000000030F4: 923E4453
	s_lshl_b32 s60, 0xff, 8                                    // 0000000030F8: 8E3C88FF 000000FF
	s_mov_b64 exec, s[60:61]                                   // 000000003100: BEFE013C
	v_mov_b32_e32 v51, s62                                     // 000000003104: 7E66023E
	s_and_b32 s84, s84, 0xffffff                               // 000000003108: 8654FF54 00FFFFFF
	s_mul_i32 s62, s84, s68                                    // 000000003110: 923E4454
	s_lshl_b32 s60, 0xff, 16                                   // 000000003114: 8E3C90FF 000000FF
	s_mov_b64 exec, s[60:61]                                   // 00000000311C: BEFE013C
	v_mov_b32_e32 v51, s62                                     // 000000003120: 7E66023E
	s_and_b32 s85, s85, 0xffffff                               // 000000003124: 8655FF55 00FFFFFF
	s_mul_i32 s62, s85, s68                                    // 00000000312C: 923E4455
	s_lshl_b32 s60, 0xff, 24                                   // 000000003130: 8E3C98FF 000000FF
	s_mov_b64 exec, s[60:61]                                   // 000000003138: BEFE013C
	v_mov_b32_e32 v51, s62                                     // 00000000313C: 7E66023E
	s_and_b32 s86, s86, 0xffffff                               // 000000003140: 8656FF56 00FFFFFF
	s_mul_i32 s62, s86, s68                                    // 000000003148: 923E4456
	s_lshl_b32 s61, 0xff, 0                                    // 00000000314C: 8E3D80FF 000000FF
	s_mov_b32 s60, 0                                           // 000000003154: BEBC0080
	s_mov_b64 exec, s[60:61]                                   // 000000003158: BEFE013C
	v_mov_b32_e32 v51, s62                                     // 00000000315C: 7E66023E
	s_and_b32 s87, s87, 0xffffff                               // 000000003160: 8657FF57 00FFFFFF
	s_mul_i32 s62, s87, s68                                    // 000000003168: 923E4457
	s_lshl_b32 s61, 0xff, 8                                    // 00000000316C: 8E3D88FF 000000FF
	s_mov_b64 exec, s[60:61]                                   // 000000003174: BEFE013C
	v_mov_b32_e32 v51, s62                                     // 000000003178: 7E66023E
	s_and_b32 s88, s88, 0xffffff                               // 00000000317C: 8658FF58 00FFFFFF
	s_mul_i32 s62, s88, s68                                    // 000000003184: 923E4458
	s_lshl_b32 s61, 0xff, 16                                   // 000000003188: 8E3D90FF 000000FF
	s_mov_b64 exec, s[60:61]                                   // 000000003190: BEFE013C
	v_mov_b32_e32 v51, s62                                     // 000000003194: 7E66023E
	s_and_b32 s89, s89, 0xffffff                               // 000000003198: 8659FF59 00FFFFFF
	s_mul_i32 s62, s89, s68                                    // 0000000031A0: 923E4459
	s_lshl_b32 s61, 0xff, 24                                   // 0000000031A4: 8E3D98FF 000000FF
	s_mov_b64 exec, s[60:61]                                   // 0000000031AC: BEFE013C
	v_mov_b32_e32 v51, s62                                     // 0000000031B0: 7E66023E
	s_mov_b32 s60, -1                                          // 0000000031B4: BEBC00C1
	s_mov_b32 s61, -1                                          // 0000000031B8: BEBD00C1
	s_mov_b64 exec, s[60:61]                                   // 0000000031BC: BEFE013C
	v_and_b32_e64 v2, v0, 7                                    // 0000000031C0: D1130002 00010F00
	v_lshlrev_b32_e32 v2, 4, v2                                // 0000000031C8: 24040484
	v_add_u32_e32 v51, v51, v2                                 // 0000000031CC: 68660533
	s_mov_b32 s62, 0x80                                        // 0000000031D0: BEBE00FF 00000080
	v_add_u32_e64 v52, v51, s62                                // 0000000031D8: D1340034 00007D33
	v_lshlrev_b32_e32 v2, 2, v0                                // 0000000031E0: 24040082
	s_mul_i32 s60, s82, s71                                    // 0000000031E4: 923C4752
	v_add_u32_e64 v144, v2, s60                                // 0000000031E8: D1340090 00007902
	v_mov_b32_e32 v145, 0                                      // 0000000031F0: 7F220280
	s_mul_i32 s60, s83, s71                                    // 0000000031F4: 923C4753
	v_add_u32_e64 v146, v2, s60                                // 0000000031F8: D1340092 00007902
	v_mov_b32_e32 v147, 0                                      // 000000003200: 7F260280
	s_mul_i32 s60, s84, s71                                    // 000000003204: 923C4754
	v_add_u32_e64 v148, v2, s60                                // 000000003208: D1340094 00007902
	v_mov_b32_e32 v149, 0                                      // 000000003210: 7F2A0280
	s_mul_i32 s60, s85, s71                                    // 000000003214: 923C4755
	v_add_u32_e64 v150, v2, s60                                // 000000003218: D1340096 00007902
	v_mov_b32_e32 v151, 0                                      // 000000003220: 7F2E0280
	s_mul_i32 s60, s86, s71                                    // 000000003224: 923C4756
	v_add_u32_e64 v152, v2, s60                                // 000000003228: D1340098 00007902
	v_mov_b32_e32 v153, 0                                      // 000000003230: 7F320280
	s_mul_i32 s60, s87, s71                                    // 000000003234: 923C4757
	v_add_u32_e64 v154, v2, s60                                // 000000003238: D134009A 00007902
	v_mov_b32_e32 v155, 0                                      // 000000003240: 7F360280
	s_mul_i32 s60, s88, s71                                    // 000000003244: 923C4758
	v_add_u32_e64 v156, v2, s60                                // 000000003248: D134009C 00007902
	v_mov_b32_e32 v157, 0                                      // 000000003250: 7F3A0280
	s_mul_i32 s60, s89, s71                                    // 000000003254: 923C4759
	v_add_u32_e64 v158, v2, s60                                // 000000003258: D134009E 00007902
	v_mov_b32_e32 v159, 0                                      // 000000003260: 7F3E0280
	s_mul_i32 s60, s7, 0x420                                   // 000000003264: 923CFF07 00000420
	s_add_u32 s50, 0, s60                                      // 00000000326C: 80323C80
	s_add_u32 s51, 0x1080, s50                                 // 000000003270: 803332FF 00001080
	v_and_b32_e32 v2, 15, v0                                   // 000000003278: 2604008F
	v_lshrrev_b32_e32 v3, 3, v2                                // 00000000327C: 20060483
	v_mul_lo_u32 v3, 2, v3                                     // 000000003280: D2850003 00020682
	v_and_b32_e32 v2, 3, v0                                    // 000000003288: 26040083
	v_lshrrev_b32_e32 v4, 1, v2                                // 00000000328C: 20080481
	v_add_u32_e32 v2, v3, v4                                   // 000000003290: 68040903
	v_mul_i32_i24_e32 v6, 0x420, v2                            // 000000003294: 0C0C04FF 00000420
	v_and_b32_e32 v2, 7, v0                                    // 00000000329C: 26040087
	v_lshrrev_b32_e32 v3, 2, v2                                // 0000000032A0: 20060482
	v_mul_i32_i24_e32 v3, 0x100, v3                            // 0000000032A4: 0C0606FF 00000100
	v_and_b32_e32 v2, 1, v0                                    // 0000000032AC: 26040081
	v_mul_i32_i24_e32 v4, 0x80, v2                             // 0000000032B0: 0C0804FF 00000080
	v_add_u32_e32 v6, v3, v6                                   // 0000000032B8: 680C0D03
	v_add_u32_e32 v6, v4, v6                                   // 0000000032BC: 680C0D04
	v_lshrrev_b32_e32 v2, 4, v0                                // 0000000032C0: 20040084
	v_mul_lo_u32 v2, 16, v2                                    // 0000000032C4: D2850002 00020490
	v_add_u32_e32 v6, v2, v6                                   // 0000000032CC: 680C0D02
	s_mul_i32 s60, s2, 0x200                                   // 0000000032D0: 923CFF02 00000200
	s_mul_i32 s60, s60, s69                                    // 0000000032D8: 923C453C
	s_mul_i32 s61, s5, s72                                     // 0000000032DC: 923D4805
	s_add_u32 s60, s61, s60                                    // 0000000032E0: 803C3C3D
	s_add_u32 s24, s60, s24                                    // 0000000032E4: 8018183C
	s_addc_u32 s25, 0, s25                                     // 0000000032E8: 82191980
	s_mul_i32 s60, s7, 32                                      // 0000000032EC: 923CA007
	s_mul_i32 s60, s60, s69                                    // 0000000032F0: 923C453C
	v_lshlrev_b32_e32 v52, 4, v0                               // 0000000032F4: 24680084
	v_add_u32_e32 v52, s60, v52                                // 0000000032F8: 6868683C
	s_mul_i32 s60, 16, s69                                     // 0000000032FC: 923C4590
	v_add_u32_e32 v53, s60, v52                                // 000000003300: 686A683C
	s_mul_i32 s60, 0x80, s69                                   // 000000003304: 923C45FF 00000080
	v_add_u32_e32 v54, s60, v52                                // 00000000330C: 686C683C
	v_add_u32_e32 v55, s60, v53                                // 000000003310: 686E6A3C
	v_add_u32_e32 v56, s60, v54                                // 000000003314: 68706C3C
	v_add_u32_e32 v57, s60, v55                                // 000000003318: 68726E3C
	v_add_u32_e32 v58, s60, v56                                // 00000000331C: 6874703C
	v_add_u32_e32 v59, s60, v57                                // 000000003320: 6876723C
	s_mov_b32 s92, s24                                         // 000000003324: BEDC0018
	s_mov_b32 s93, s25                                         // 000000003328: BEDD0019
	s_mov_b32 s94, s26                                         // 00000000332C: BEDE001A
	s_mov_b32 s95, s27                                         // 000000003330: BEDF001B
	s_mul_i32 s60, s69, s65                                    // 000000003334: 923C4145
	s_add_u32 s92, s60, s92                                    // 000000003338: 805C5C3C
	s_addc_u32 s93, 0, s93                                     // 00000000333C: 825D5D80
	s_mul_i32 s60, s2, 0x1000                                  // 000000003340: 923CFF02 00001000
	s_mul_i32 s61, s5, s73                                     // 000000003348: 923D4905
	s_add_u32 s60, s61, s60                                    // 00000000334C: 803C3C3D
	s_add_u32 s12, s60, s12                                    // 000000003350: 800C0C3C
	s_addc_u32 s13, 0, s13                                     // 000000003354: 820D0D80
	s_mul_i32 s60, s7, 32                                      // 000000003358: 923CA007
	s_mul_i32 s60, s60, s70                                    // 00000000335C: 923C463C
	v_lshlrev_b32_e32 v60, 4, v0                               // 000000003360: 24780084
	v_add_u32_e32 v60, s60, v60                                // 000000003364: 6878783C
	s_mul_i32 s60, 16, s70                                     // 000000003368: 923C4690
	v_add_u32_e32 v61, s60, v60                                // 00000000336C: 687A783C
	s_mul_i32 s60, 0x80, s70                                   // 000000003370: 923C46FF 00000080
	v_add_u32_e32 v62, s60, v60                                // 000000003378: 687C783C
	v_add_u32_e32 v63, s60, v61                                // 00000000337C: 687E7A3C
	s_mul_i32 s56, s70, 0x100                                  // 000000003380: 9238FF46 00000100
	s_mul_i32 s60, s3, 32                                      // 000000003388: 923CA003
	s_mul_i32 s60, 4, s60                                      // 00000000338C: 923C3C84
	s_add_u32 s40, s60, s40                                    // 000000003390: 8028283C
	s_addc_u32 s41, 0, s41                                     // 000000003394: 82292980
	v_and_b32_e32 v2, 15, v0                                   // 000000003398: 2604008F
	v_lshlrev_b32_e32 v13, 2, v2                               // 00000000339C: 241A0482
	v_add_u32_e32 v14, 64, v13                                 // 0000000033A0: 681C1AC0
	s_mov_b32 s4, 0x100                                        // 0000000033A4: BE8400FF 00000100
	v_lshlrev_b32_e32 v15, 2, v0                               // 0000000033AC: 241E0082
	s_lshr_b32 s61, s64, 5                                     // 0000000033B0: 8F3D8540
	s_mul_i32 s60, s7, 32                                      // 0000000033B4: 923CA007
	s_mul_i32 s60, s61, s60                                    // 0000000033B8: 923C3C3D
	v_add_u32_e64 v15, v15, s60                                // 0000000033BC: D134000F 0000790F
	s_mul_i32 s60, s65, s61                                    // 0000000033C4: 923C3D41
	v_add_u32_e64 v19, v15, s60                                // 0000000033C8: D1340013 0000790F
	s_mul_i32 s60, s61, 0x80                                   // 0000000033D0: 923CFF3D 00000080
	v_add_u32_e64 v16, v15, s60                                // 0000000033D8: D1340010 0000790F
	v_add_u32_e64 v20, v19, s60                                // 0000000033E0: D1340014 00007913
	v_add_u32_e64 v17, v16, s60                                // 0000000033E8: D1340011 00007910
	v_add_u32_e64 v21, v20, s60                                // 0000000033F0: D1340015 00007914
	v_add_u32_e64 v18, v17, s60                                // 0000000033F8: D1340012 00007911
	v_add_u32_e64 v22, v21, s60                                // 000000003400: D1340016 00007915
	s_mul_i32 s60, s2, 0x200                                   // 000000003408: 923CFF02 00000200
	s_mul_i32 s60, s60, s61                                    // 000000003410: 923C3D3C
	s_mul_i32 s61, s5, s74                                     // 000000003414: 923D4A05
	s_add_u32 s61, s61, s60                                    // 000000003418: 803D3C3D
	s_add_u32 s32, s61, s32                                    // 00000000341C: 8020203D
	s_addc_u32 s33, 0, s33                                     // 000000003420: 82212180
	v_lshlrev_b32_e32 v10, 2, v0                               // 000000003424: 24140082
	s_lshr_b32 s60, s65, 5                                     // 000000003428: 8F3C8541
	s_mul_i32 s61, s7, 32                                      // 00000000342C: 923DA007
	s_mul_i32 s61, s61, s60                                    // 000000003430: 923D3C3D
	v_add_u32_e32 v10, s61, v10                                // 000000003434: 6814143D
	s_mul_i32 s60, s60, 0x80                                   // 000000003438: 923CFF3C 00000080
	v_add_u32_e64 v11, v10, s60                                // 000000003440: D134000B 0000790A
	s_mul_i32 s60, s2, 0x200                                   // 000000003448: 923CFF02 00000200
	s_mul_i32 s61, s5, s75                                     // 000000003450: 923D4B05
	s_add_u32 s60, s60, s61                                    // 000000003454: 803C3D3C
	s_add_u32 s16, s60, s16                                    // 000000003458: 8010103C
	s_addc_u32 s17, 0, s17                                     // 00000000345C: 82111180
	s_mov_b32 s57, 0x80                                        // 000000003460: BEB900FF 00000080
	s_mov_b32 s58, 0x800                                       // 000000003468: BEBA00FF 00000800
	s_lshr_b32 s60, s65, 5                                     // 000000003470: 8F3C8541
	s_mul_i32 s79, s60, 0x100                                  // 000000003474: 924FFF3C 00000100
	s_mov_b32 s59, 0                                           // 00000000347C: BEBB0080
	s_mov_b32 s90, s58                                         // 000000003480: BEDA003A
	s_mov_b32 s52, 0x7060302                                   // 000000003484: BEB400FF 07060302
	s_mov_b32 s53, 0x400                                       // 00000000348C: BEB500FF 00000400
	s_mov_b32 s54, 0x40100                                     // 000000003494: BEB600FF 00040100
	s_mov_b32 s55, 0x4020100                                   // 00000000349C: BEB700FF 04020100
	s_mov_b32 s6, 0x3fb8aa3b                                   // 0000000034A4: BE8600FF 3FB8AA3B
	s_mov_b32 s77, 0xbd92220c                                  // 0000000034AC: BECD00FF BD92220C
	s_mov_b32 m0, s50                                          // 0000000034B4: BEFC0032
	s_mul_i32 s60, s3, 32                                      // 0000000034B8: 923CA003
	s_mul_i32 s60, s64, s60                                    // 0000000034BC: 923C3C40
	s_lshr_b32 s60, s60, 5                                     // 0000000034C0: 8F3C853C
	s_add_u32 s28, s60, s28                                    // 0000000034C4: 801C1C3C
	s_addc_u32 s29, 0, s29                                     // 0000000034C8: 821D1D80
	v_lshlrev_b32_e32 v12, 2, v0                               // 0000000034CC: 24180082
	s_mov_b32 s3, 0x100                                        // 0000000034D0: BE8300FF 00000100
	buffer_load_dword v25, v15, s[32:35], 0 offen              // 0000000034D8: E0501000 8008190F
	buffer_load_dword v26, v16, s[32:35], 0 offen              // 0000000034E0: E0501000 80081A10
	buffer_load_dword v27, v17, s[32:35], 0 offen              // 0000000034E8: E0501000 80081B11
	buffer_load_dword v28, v18, s[32:35], 0 offen              // 0000000034F0: E0501000 80081C12
	buffer_load_dword v41, v13, s[40:43], 0 offen              // 0000000034F8: E0501000 800A290D
	buffer_load_dword v42, v14, s[40:43], 0 offen              // 000000003500: E0501000 800A2A0E
	buffer_load_dwordx4 v51, s[20:23], 0 offen lds             // 000000003508: E05D1000 80050033
	s_add_u32 m0, 0, s51                                       // 000000003510: 807C3380
	buffer_load_dword v23, v12, s[28:31], 0 offen              // 000000003514: E0501000 8007170C
	s_add_u32 s20, s57, s20                                    // 00000000351C: 80141439
	s_addc_u32 s21, 0, s21                                     // 000000003520: 82151580
	s_add_u32 s28, s3, s28                                     // 000000003524: 801C1C03
	s_addc_u32 s29, 0, s29                                     // 000000003528: 821D1D80
	buffer_load_dwordx4 a[0:3], v52, s[24:27], 0 offen         // 00000000352C: E05C1000 80860034
	buffer_load_dwordx4 a[4:7], v53, s[24:27], 0 offen         // 000000003534: E05C1000 80860435
	buffer_load_dwordx4 a[8:11], v54, s[24:27], 0 offen        // 00000000353C: E05C1000 80860836
	buffer_load_dwordx4 a[12:15], v55, s[24:27], 0 offen       // 000000003544: E05C1000 80860C37
	buffer_load_dwordx4 a[16:19], v56, s[24:27], 0 offen       // 00000000354C: E05C1000 80861038
	buffer_load_dwordx4 a[20:23], v57, s[24:27], 0 offen       // 000000003554: E05C1000 80861439
	buffer_load_dwordx4 a[24:27], v58, s[24:27], 0 offen       // 00000000355C: E05C1000 8086183A
	buffer_load_dwordx4 a[28:31], v59, s[24:27], 0 offen       // 000000003564: E05C1000 80861C3B
	buffer_load_dwordx4 a[32:35], v52, s[24:27], 0 offen offset:1024// 00000000356C: E05C1400 80862034
	buffer_load_dwordx4 a[36:39], v53, s[24:27], 0 offen offset:1024// 000000003574: E05C1400 80862435
	buffer_load_dwordx4 a[40:43], v54, s[24:27], 0 offen offset:1024// 00000000357C: E05C1400 80862836
	buffer_load_dwordx4 a[44:47], v55, s[24:27], 0 offen offset:1024// 000000003584: E05C1400 80862C37
	buffer_load_dwordx4 a[48:51], v56, s[24:27], 0 offen offset:1024// 00000000358C: E05C1400 80863038
	buffer_load_dwordx4 a[52:55], v57, s[24:27], 0 offen offset:1024// 000000003594: E05C1400 80863439
	buffer_load_dwordx4 a[56:59], v58, s[24:27], 0 offen offset:1024// 00000000359C: E05C1400 8086383A
	buffer_load_dwordx4 a[60:63], v59, s[24:27], 0 offen offset:1024// 0000000035A4: E05C1400 80863C3B
	s_add_u32 s24, s58, s24                                    // 0000000035AC: 8018183A
	s_addc_u32 s25, 0, s25                                     // 0000000035B0: 82191980
	v_mov_b32_e32 v64, 0                                       // 0000000035B4: 7E800280
	v_mov_b32_e32 v128, 0                                      // 0000000035B8: 7F000280
	v_mov_b32_e32 v65, 0                                       // 0000000035BC: 7E820280
	v_mov_b32_e32 v129, 0                                      // 0000000035C0: 7F020280
	v_mov_b32_e32 v66, 0                                       // 0000000035C4: 7E840280
	v_mov_b32_e32 v130, 0                                      // 0000000035C8: 7F040280
	v_mov_b32_e32 v67, 0                                       // 0000000035CC: 7E860280
	v_mov_b32_e32 v131, 0                                      // 0000000035D0: 7F060280
	v_mov_b32_e32 v68, 0                                       // 0000000035D4: 7E880280
	v_mov_b32_e32 v132, 0                                      // 0000000035D8: 7F080280
	v_mov_b32_e32 v69, 0                                       // 0000000035DC: 7E8A0280
	v_mov_b32_e32 v133, 0                                      // 0000000035E0: 7F0A0280
	v_mov_b32_e32 v70, 0                                       // 0000000035E4: 7E8C0280
	v_mov_b32_e32 v134, 0                                      // 0000000035E8: 7F0C0280
	v_mov_b32_e32 v71, 0                                       // 0000000035EC: 7E8E0280
	v_mov_b32_e32 v135, 0                                      // 0000000035F0: 7F0E0280
	v_mov_b32_e32 v72, 0                                       // 0000000035F4: 7E900280
	v_mov_b32_e32 v136, 0                                      // 0000000035F8: 7F100280
	v_mov_b32_e32 v73, 0                                       // 0000000035FC: 7E920280
	v_mov_b32_e32 v137, 0                                      // 000000003600: 7F120280
	v_mov_b32_e32 v74, 0                                       // 000000003604: 7E940280
	v_mov_b32_e32 v138, 0                                      // 000000003608: 7F140280
	v_mov_b32_e32 v75, 0                                       // 00000000360C: 7E960280
	v_mov_b32_e32 v139, 0                                      // 000000003610: 7F160280
	v_mov_b32_e32 v76, 0                                       // 000000003614: 7E980280
	v_mov_b32_e32 v140, 0                                      // 000000003618: 7F180280
	v_mov_b32_e32 v77, 0                                       // 00000000361C: 7E9A0280
	v_mov_b32_e32 v141, 0                                      // 000000003620: 7F1A0280
	v_mov_b32_e32 v78, 0                                       // 000000003624: 7E9C0280
	v_mov_b32_e32 v142, 0                                      // 000000003628: 7F1C0280
	v_mov_b32_e32 v79, 0                                       // 00000000362C: 7E9E0280
	v_mov_b32_e32 v143, 0                                      // 000000003630: 7F1E0280
	v_mov_b32_e32 v80, 0                                       // 000000003634: 7EA00280
	v_mov_b32_e32 v144, 0                                      // 000000003638: 7F200280
	v_mov_b32_e32 v81, 0                                       // 00000000363C: 7EA20280
	v_mov_b32_e32 v145, 0                                      // 000000003640: 7F220280
	v_mov_b32_e32 v82, 0                                       // 000000003644: 7EA40280
	v_mov_b32_e32 v146, 0                                      // 000000003648: 7F240280
	v_mov_b32_e32 v83, 0                                       // 00000000364C: 7EA60280
	v_mov_b32_e32 v147, 0                                      // 000000003650: 7F260280
	v_mov_b32_e32 v84, 0                                       // 000000003654: 7EA80280
	v_mov_b32_e32 v148, 0                                      // 000000003658: 7F280280
	v_mov_b32_e32 v85, 0                                       // 00000000365C: 7EAA0280
	v_mov_b32_e32 v149, 0                                      // 000000003660: 7F2A0280
	v_mov_b32_e32 v86, 0                                       // 000000003664: 7EAC0280
	v_mov_b32_e32 v150, 0                                      // 000000003668: 7F2C0280
	v_mov_b32_e32 v87, 0                                       // 00000000366C: 7EAE0280
	v_mov_b32_e32 v151, 0                                      // 000000003670: 7F2E0280
	v_mov_b32_e32 v88, 0                                       // 000000003674: 7EB00280
	v_mov_b32_e32 v152, 0                                      // 000000003678: 7F300280
	v_mov_b32_e32 v89, 0                                       // 00000000367C: 7EB20280
	v_mov_b32_e32 v153, 0                                      // 000000003680: 7F320280
	v_mov_b32_e32 v90, 0                                       // 000000003684: 7EB40280
	v_mov_b32_e32 v154, 0                                      // 000000003688: 7F340280
	v_mov_b32_e32 v91, 0                                       // 00000000368C: 7EB60280
	v_mov_b32_e32 v155, 0                                      // 000000003690: 7F360280
	v_mov_b32_e32 v92, 0                                       // 000000003694: 7EB80280
	v_mov_b32_e32 v156, 0                                      // 000000003698: 7F380280
	v_mov_b32_e32 v93, 0                                       // 00000000369C: 7EBA0280
	v_mov_b32_e32 v157, 0                                      // 0000000036A0: 7F3A0280
	v_mov_b32_e32 v94, 0                                       // 0000000036A4: 7EBC0280
	v_mov_b32_e32 v158, 0                                      // 0000000036A8: 7F3C0280
	v_mov_b32_e32 v95, 0                                       // 0000000036AC: 7EBE0280
	v_mov_b32_e32 v159, 0                                      // 0000000036B0: 7F3E0280
	v_mov_b32_e32 v96, 0                                       // 0000000036B4: 7EC00280
	v_mov_b32_e32 v160, 0                                      // 0000000036B8: 7F400280
	v_mov_b32_e32 v97, 0                                       // 0000000036BC: 7EC20280
	v_mov_b32_e32 v161, 0                                      // 0000000036C0: 7F420280
	v_mov_b32_e32 v98, 0                                       // 0000000036C4: 7EC40280
	v_mov_b32_e32 v162, 0                                      // 0000000036C8: 7F440280
	v_mov_b32_e32 v99, 0                                       // 0000000036CC: 7EC60280
	v_mov_b32_e32 v163, 0                                      // 0000000036D0: 7F460280
	v_mov_b32_e32 v100, 0                                      // 0000000036D4: 7EC80280
	v_mov_b32_e32 v164, 0                                      // 0000000036D8: 7F480280
	v_mov_b32_e32 v101, 0                                      // 0000000036DC: 7ECA0280
	v_mov_b32_e32 v165, 0                                      // 0000000036E0: 7F4A0280
	v_mov_b32_e32 v102, 0                                      // 0000000036E4: 7ECC0280
	v_mov_b32_e32 v166, 0                                      // 0000000036E8: 7F4C0280
	v_mov_b32_e32 v103, 0                                      // 0000000036EC: 7ECE0280
	v_mov_b32_e32 v167, 0                                      // 0000000036F0: 7F4E0280
	v_mov_b32_e32 v104, 0                                      // 0000000036F4: 7ED00280
	v_mov_b32_e32 v168, 0                                      // 0000000036F8: 7F500280
	v_mov_b32_e32 v105, 0                                      // 0000000036FC: 7ED20280
	v_mov_b32_e32 v169, 0                                      // 000000003700: 7F520280
	v_mov_b32_e32 v106, 0                                      // 000000003704: 7ED40280
	v_mov_b32_e32 v170, 0                                      // 000000003708: 7F540280
	v_mov_b32_e32 v107, 0                                      // 00000000370C: 7ED60280
	v_mov_b32_e32 v171, 0                                      // 000000003710: 7F560280
	v_mov_b32_e32 v108, 0                                      // 000000003714: 7ED80280
	v_mov_b32_e32 v172, 0                                      // 000000003718: 7F580280
	v_mov_b32_e32 v109, 0                                      // 00000000371C: 7EDA0280
	v_mov_b32_e32 v173, 0                                      // 000000003720: 7F5A0280
	v_mov_b32_e32 v110, 0                                      // 000000003724: 7EDC0280
	v_mov_b32_e32 v174, 0                                      // 000000003728: 7F5C0280
	v_mov_b32_e32 v111, 0                                      // 00000000372C: 7EDE0280
	v_mov_b32_e32 v175, 0                                      // 000000003730: 7F5E0280
	v_mov_b32_e32 v112, 0                                      // 000000003734: 7EE00280
	v_mov_b32_e32 v176, 0                                      // 000000003738: 7F600280
	v_mov_b32_e32 v113, 0                                      // 00000000373C: 7EE20280
	v_mov_b32_e32 v177, 0                                      // 000000003740: 7F620280
	v_mov_b32_e32 v114, 0                                      // 000000003744: 7EE40280
	v_mov_b32_e32 v178, 0                                      // 000000003748: 7F640280
	v_mov_b32_e32 v115, 0                                      // 00000000374C: 7EE60280
	v_mov_b32_e32 v179, 0                                      // 000000003750: 7F660280
	v_mov_b32_e32 v116, 0                                      // 000000003754: 7EE80280
	v_mov_b32_e32 v180, 0                                      // 000000003758: 7F680280
	v_mov_b32_e32 v117, 0                                      // 00000000375C: 7EEA0280
	v_mov_b32_e32 v181, 0                                      // 000000003760: 7F6A0280
	v_mov_b32_e32 v118, 0                                      // 000000003764: 7EEC0280
	v_mov_b32_e32 v182, 0                                      // 000000003768: 7F6C0280
	v_mov_b32_e32 v119, 0                                      // 00000000376C: 7EEE0280
	v_mov_b32_e32 v183, 0                                      // 000000003770: 7F6E0280
	v_mov_b32_e32 v120, 0                                      // 000000003774: 7EF00280
	v_mov_b32_e32 v184, 0                                      // 000000003778: 7F700280
	v_mov_b32_e32 v121, 0                                      // 00000000377C: 7EF20280
	v_mov_b32_e32 v185, 0                                      // 000000003780: 7F720280
	v_mov_b32_e32 v122, 0                                      // 000000003784: 7EF40280
	v_mov_b32_e32 v186, 0                                      // 000000003788: 7F740280
	v_mov_b32_e32 v123, 0                                      // 00000000378C: 7EF60280
	v_mov_b32_e32 v187, 0                                      // 000000003790: 7F760280
	v_mov_b32_e32 v124, 0                                      // 000000003794: 7EF80280
	v_mov_b32_e32 v188, 0                                      // 000000003798: 7F780280
	v_mov_b32_e32 v125, 0                                      // 00000000379C: 7EFA0280
	v_mov_b32_e32 v189, 0                                      // 0000000037A0: 7F7A0280
	v_mov_b32_e32 v126, 0                                      // 0000000037A4: 7EFC0280
	v_mov_b32_e32 v190, 0                                      // 0000000037A8: 7F7C0280
	v_mov_b32_e32 v127, 0                                      // 0000000037AC: 7EFE0280
	v_mov_b32_e32 v191, 0                                      // 0000000037B0: 7F7E0280
	v_lshrrev_b32_e32 v2, 4, v0                                // 0000000037B4: 20040084
	v_mul_lo_u32 v8, 34, v2                                    // 0000000037B8: D2850008 000204A2
	v_and_b32_e32 v2, 15, v0                                   // 0000000037C0: 2604008F
	v_mul_lo_u32 v3, 2, v2                                     // 0000000037C4: D2850003 00020482
	v_add_u32_e32 v8, v3, v8                                   // 0000000037CC: 68101103
	s_mul_i32 s60, s7, 0x110                                   // 0000000037D0: 923CFF07 00000110
	v_add_u32_e32 v8, s60, v8                                  // 0000000037D8: 6810103C
	v_lshlrev_b32_e32 v8, 2, v8                                // 0000000037DC: 24101082
	v_lshrrev_b32_e32 v2, 1, v0                                // 0000000037E0: 20040081
	v_mul_lo_u32 v9, 34, v2                                    // 0000000037E4: D2850009 000204A2
	v_and_b32_e32 v3, 1, v0                                    // 0000000037EC: 26060081
	v_add_u32_e32 v9, v3, v9                                   // 0000000037F0: 68121303
	s_lshr_b32 s60, s7, 1                                      // 0000000037F4: 8F3C8107
	s_mul_i32 s60, s60, 8                                      // 0000000037F8: 923C883C
	s_and_b32 s61, s7, 1                                       // 0000000037FC: 863D8107
	s_mul_i32 s61, s61, 2                                      // 000000003800: 923D823D
	s_add_u32 s60, s61, s60                                    // 000000003804: 803C3C3D
	s_mul_i32 s60, 2, s60                                      // 000000003808: 923C3C82
	v_add_u32_e32 v9, s60, v9                                  // 00000000380C: 6812123C
	v_lshlrev_b32_e32 v9, 2, v9                                // 000000003810: 24121282
	s_waitcnt vmcnt(16)                                        // 000000003814: BF8C4F70
	s_barrier                                                  // 000000003818: BF8A0000
	ds_read_b128 v[192:195], v6                                // 00000000381C: D9FE0000 C0000006
	ds_read_b128 v[196:199], v6 offset:64                      // 000000003824: D9FE0040 C4000006
	ds_read_b128 v[200:203], v6 offset:512                     // 00000000382C: D9FE0200 C8000006
	ds_read_b128 v[204:207], v6 offset:576                     // 000000003834: D9FE0240 CC000006
	s_cmp_lt_i32 s7, 2                                         // 00000000383C: BF048207
	s_cbranch_scc0 label_0DF8                                  // 000000003840: BF840B67

0000000000003844 <label_0291>:
	s_waitcnt vmcnt(14) lgkmcnt(0)                             // 000000003844: BF8C007E
	s_barrier                                                  // 000000003848: BF8A0000
	v_mfma_scale_f32_16x16x128_f8f6f4 v[64:67], a[0:3], v[192:195], v[64:67], v25, v23 op_sel_hi:[0,0,0] cbsz:4 blgp:4// 00000000384C: D3AC6000 00022F19 D3AD0C40 8D038100
	v_mfma_scale_f32_16x16x128_f8f6f4 v[96:99], a[0:3], v[200:203], v[96:99], v25, v23 op_sel_hi:[0,0,0] cbsz:4 blgp:4// 00000000385C: D3AC7000 00022F19 D3AD0C60 8D839100
	buffer_load_dwordx4 a[64:67], v52, s[92:95], 0 offen       // 00000000386C: E05C1000 80974034
	buffer_load_dwordx4 v51, s[20:23], 0 offen lds             // 000000003874: E05D1000 80050033
	s_add_u32 m0, 0, s50                                       // 00000000387C: 807C3280
	v_mfma_scale_f32_16x16x128_f8f6f4 v[68:71], a[4:7], v[192:195], v[68:71], v25, v23 op_sel_hi:[0,0,0] cbsz:4 blgp:4// 000000003880: D3AC6800 00022F19 D3AD0C44 8D138104
	v_mfma_scale_f32_16x16x128_f8f6f4 v[100:103], a[4:7], v[200:203], v[100:103], v25, v23 op_sel_hi:[0,0,0] cbsz:4 blgp:4// 000000003890: D3AC7800 00022F19 D3AD0C64 8D939104
	buffer_load_dwordx4 a[68:71], v53, s[92:95], 0 offen       // 0000000038A0: E05C1000 80974435
	buffer_load_dword v24, v12, s[28:31], 0 offen              // 0000000038A8: E0501000 8007180C
	buffer_load_dword v33, v19, s[32:35], 0 offen              // 0000000038B0: E0501000 80082113
	buffer_load_dword v34, v20, s[32:35], 0 offen              // 0000000038B8: E0501000 80082214
	buffer_load_dword v35, v21, s[32:35], 0 offen              // 0000000038C0: E0501000 80082315
	buffer_load_dword v36, v22, s[32:35], 0 offen              // 0000000038C8: E0501000 80082416
	s_waitcnt vmcnt(20)                                        // 0000000038D0: BF8C4F74
	v_mfma_scale_f32_16x16x128_f8f6f4 v[72:75], a[8:11], v[192:195], v[72:75], v26, v23 op_sel_hi:[0,0,0] cbsz:4 blgp:4// 0000000038D4: D3AC6000 00022F1A D3AD0C48 8D238108
	v_mfma_scale_f32_16x16x128_f8f6f4 v[104:107], a[8:11], v[200:203], v[104:107], v26, v23 op_sel_hi:[0,0,0] cbsz:4 blgp:4// 0000000038E4: D3AC7000 00022F1A D3AD0C68 8DA39108
	buffer_load_dwordx4 a[72:75], v54, s[92:95], 0 offen       // 0000000038F4: E05C1000 80974836
	v_mfma_scale_f32_16x16x128_f8f6f4 v[76:79], a[12:15], v[192:195], v[76:79], v26, v23 op_sel_hi:[0,0,0] cbsz:4 blgp:4// 0000000038FC: D3AC6800 00022F1A D3AD0C4C 8D33810C
	v_mfma_scale_f32_16x16x128_f8f6f4 v[108:111], a[12:15], v[200:203], v[108:111], v26, v23 op_sel_hi:[0,0,0] cbsz:4 blgp:4// 00000000390C: D3AC7800 00022F1A D3AD0C6C 8DB3910C
	buffer_load_dwordx4 a[76:79], v55, s[92:95], 0 offen       // 00000000391C: E05C1000 80974C37
	s_waitcnt vmcnt(20)                                        // 000000003924: BF8C4F74
	v_mfma_scale_f32_16x16x128_f8f6f4 v[80:83], a[16:19], v[192:195], v[80:83], v27, v23 op_sel_hi:[0,0,0] cbsz:4 blgp:4// 000000003928: D3AC6000 00022F1B D3AD0C50 8D438110
	v_mfma_scale_f32_16x16x128_f8f6f4 v[112:115], a[16:19], v[200:203], v[112:115], v27, v23 op_sel_hi:[0,0,0] cbsz:4 blgp:4// 000000003938: D3AC7000 00022F1B D3AD0C70 8DC39110
	buffer_load_dwordx4 a[80:83], v56, s[92:95], 0 offen       // 000000003948: E05C1000 80975038
	v_mfma_scale_f32_16x16x128_f8f6f4 v[84:87], a[20:23], v[192:195], v[84:87], v27, v23 op_sel_hi:[0,0,0] cbsz:4 blgp:4// 000000003950: D3AC6800 00022F1B D3AD0C54 8D538114
	v_mfma_scale_f32_16x16x128_f8f6f4 v[116:119], a[20:23], v[200:203], v[116:119], v27, v23 op_sel_hi:[0,0,0] cbsz:4 blgp:4// 000000003960: D3AC7800 00022F1B D3AD0C74 8DD39114
	buffer_load_dwordx4 a[84:87], v57, s[92:95], 0 offen       // 000000003970: E05C1000 80975439
	s_waitcnt vmcnt(20)                                        // 000000003978: BF8C4F74
	v_mfma_scale_f32_16x16x128_f8f6f4 v[88:91], a[24:27], v[192:195], v[88:91], v28, v23 op_sel_hi:[0,0,0] cbsz:4 blgp:4// 00000000397C: D3AC6000 00022F1C D3AD0C58 8D638118
	v_mfma_scale_f32_16x16x128_f8f6f4 v[120:123], a[24:27], v[200:203], v[120:123], v28, v23 op_sel_hi:[0,0,0] cbsz:4 blgp:4// 00000000398C: D3AC7000 00022F1C D3AD0C78 8DE39118
	buffer_load_dwordx4 a[88:91], v58, s[92:95], 0 offen       // 00000000399C: E05C1000 8097583A
	v_mfma_scale_f32_16x16x128_f8f6f4 v[92:95], a[28:31], v[192:195], v[92:95], v28, v23 op_sel_hi:[0,0,0] cbsz:4 blgp:4// 0000000039A4: D3AC6800 00022F1C D3AD0C5C 8D73811C
	v_mfma_scale_f32_16x16x128_f8f6f4 v[124:127], a[28:31], v[200:203], v[124:127], v28, v23 op_sel_hi:[0,0,0] cbsz:4 blgp:4// 0000000039B4: D3AC7800 00022F1C D3AD0C7C 8DF3911C
	buffer_load_dwordx4 a[92:95], v59, s[92:95], 0 offen       // 0000000039C4: E05C1000 80975C3B
	s_nop 0                                                    // 0000000039CC: BF800000
	s_waitcnt vmcnt(20)                                        // 0000000039D0: BF8C4F74
	v_mfma_scale_f32_16x16x128_f8f6f4 v[64:67], a[32:35], v[196:199], v[64:67], v25, v23 op_sel_hi:[0,0,0] cbsz:4 blgp:4// 0000000039D4: D3AC6000 18022F19 D3AD0C40 8D038920
	v_mfma_scale_f32_16x16x128_f8f6f4 v[96:99], a[32:35], v[204:207], v[96:99], v25, v23 op_sel_hi:[0,0,0] cbsz:4 blgp:4// 0000000039E4: D3AC7000 18022F19 D3AD0C60 8D839920
	buffer_load_dwordx4 a[96:99], v52, s[92:95], 0 offen offset:1024// 0000000039F4: E05C1400 80976034
	v_mfma_scale_f32_16x16x128_f8f6f4 v[68:71], a[36:39], v[196:199], v[68:71], v25, v23 op_sel_hi:[0,0,0] cbsz:4 blgp:4// 0000000039FC: D3AC6800 18022F19 D3AD0C44 8D138924
	v_mfma_scale_f32_16x16x128_f8f6f4 v[100:103], a[36:39], v[204:207], v[100:103], v25, v23 op_sel_hi:[0,0,0] cbsz:4 blgp:4// 000000003A0C: D3AC7800 18022F19 D3AD0C64 8D939924
	buffer_load_dwordx4 a[100:103], v53, s[92:95], 0 offen offset:1024// 000000003A1C: E05C1400 80976435
	s_waitcnt vmcnt(20)                                        // 000000003A24: BF8C4F74
	v_mfma_scale_f32_16x16x128_f8f6f4 v[72:75], a[40:43], v[196:199], v[72:75], v26, v23 op_sel_hi:[0,0,0] cbsz:4 blgp:4// 000000003A28: D3AC6000 18022F1A D3AD0C48 8D238928
	v_mfma_scale_f32_16x16x128_f8f6f4 v[104:107], a[40:43], v[204:207], v[104:107], v26, v23 op_sel_hi:[0,0,0] cbsz:4 blgp:4// 000000003A38: D3AC7000 18022F1A D3AD0C68 8DA39928
	buffer_load_dwordx4 a[104:107], v54, s[92:95], 0 offen offset:1024// 000000003A48: E05C1400 80976836
	v_mfma_scale_f32_16x16x128_f8f6f4 v[76:79], a[44:47], v[196:199], v[76:79], v26, v23 op_sel_hi:[0,0,0] cbsz:4 blgp:4// 000000003A50: D3AC6800 18022F1A D3AD0C4C 8D33892C
	v_mfma_scale_f32_16x16x128_f8f6f4 v[108:111], a[44:47], v[204:207], v[108:111], v26, v23 op_sel_hi:[0,0,0] cbsz:4 blgp:4// 000000003A60: D3AC7800 18022F1A D3AD0C6C 8DB3992C
	buffer_load_dwordx4 a[108:111], v55, s[92:95], 0 offen offset:1024// 000000003A70: E05C1400 80976C37
	s_waitcnt vmcnt(20)                                        // 000000003A78: BF8C4F74
	v_mfma_scale_f32_16x16x128_f8f6f4 v[80:83], a[48:51], v[196:199], v[80:83], v27, v23 op_sel_hi:[0,0,0] cbsz:4 blgp:4// 000000003A7C: D3AC6000 18022F1B D3AD0C50 8D438930
	v_mfma_scale_f32_16x16x128_f8f6f4 v[112:115], a[48:51], v[204:207], v[112:115], v27, v23 op_sel_hi:[0,0,0] cbsz:4 blgp:4// 000000003A8C: D3AC7000 18022F1B D3AD0C70 8DC39930
	buffer_load_dwordx4 a[112:115], v56, s[92:95], 0 offen offset:1024// 000000003A9C: E05C1400 80977038
	v_mfma_scale_f32_16x16x128_f8f6f4 v[84:87], a[52:55], v[196:199], v[84:87], v27, v23 op_sel_hi:[0,0,0] cbsz:4 blgp:4// 000000003AA4: D3AC6800 18022F1B D3AD0C54 8D538934
	v_mfma_scale_f32_16x16x128_f8f6f4 v[116:119], a[52:55], v[204:207], v[116:119], v27, v23 op_sel_hi:[0,0,0] cbsz:4 blgp:4// 000000003AB4: D3AC7800 18022F1B D3AD0C74 8DD39934
	buffer_load_dwordx4 a[116:119], v57, s[92:95], 0 offen offset:1024// 000000003AC4: E05C1400 80977439
	s_waitcnt vmcnt(20)                                        // 000000003ACC: BF8C4F74
	v_mfma_scale_f32_16x16x128_f8f6f4 v[88:91], a[56:59], v[196:199], v[88:91], v28, v23 op_sel_hi:[0,0,0] cbsz:4 blgp:4// 000000003AD0: D3AC6000 18022F1C D3AD0C58 8D638938
	v_mfma_scale_f32_16x16x128_f8f6f4 v[120:123], a[56:59], v[204:207], v[120:123], v28, v23 op_sel_hi:[0,0,0] cbsz:4 blgp:4// 000000003AE0: D3AC7000 18022F1C D3AD0C78 8DE39938
	buffer_load_dwordx4 a[120:123], v58, s[92:95], 0 offen offset:1024// 000000003AF0: E05C1400 8097783A
	v_mfma_scale_f32_16x16x128_f8f6f4 v[92:95], a[60:63], v[196:199], v[92:95], v28, v23 op_sel_hi:[0,0,0] cbsz:4 blgp:4// 000000003AF8: D3AC6800 18022F1C D3AD0C5C 8D73893C
	v_mfma_scale_f32_16x16x128_f8f6f4 v[124:127], a[60:63], v[204:207], v[124:127], v28, v23 op_sel_hi:[0,0,0] cbsz:4 blgp:4// 000000003B08: D3AC7800 18022F1C D3AD0C7C 8DF3993C
	buffer_load_dwordx4 a[124:127], v59, s[92:95], 0 offen offset:1024// 000000003B18: E05C1400 80977C3B
	s_add_u32 s60, 0x100, s80                                  // 000000003B20: 803C50FF 00000100
	s_cmp_lt_u32 s60, s81                                      // 000000003B28: BF0A513C
	s_cselect_b32 s4, s4, 0                                    // 000000003B2C: 85048004
	s_add_u32 s32, s4, s32                                     // 000000003B30: 80202004
	s_addc_u32 s33, 0, s33                                     // 000000003B34: 82212180
	s_waitcnt vmcnt(14)                                        // 000000003B38: BF8C0F7E
	s_barrier                                                  // 000000003B3C: BF8A0000
	v_mfma_scale_f32_16x16x128_f8f6f4 v[128:131], a[64:67], v[192:195], v[128:131], v33, v23 op_sel_hi:[0,0,0] cbsz:4 blgp:4// 000000003B40: D3AC6000 00022F21 D3AD0C80 8E038140
	v_mfma_scale_f32_16x16x128_f8f6f4 v[160:163], a[64:67], v[200:203], v[160:163], v33, v23 op_sel_hi:[0,0,0] cbsz:4 blgp:4// 000000003B50: D3AC7000 00022F21 D3AD0CA0 8E839140
	buffer_load_dwordx4 a[0:3], v52, s[24:27], 0 offen         // 000000003B60: E05C1000 80860034
	buffer_load_dword v29, v15, s[32:35], 0 offen              // 000000003B68: E0501000 80081D0F
	buffer_load_dword v30, v16, s[32:35], 0 offen              // 000000003B70: E0501000 80081E10
	v_mfma_scale_f32_16x16x128_f8f6f4 v[132:135], a[68:71], v[192:195], v[132:135], v33, v23 op_sel_hi:[0,0,0] cbsz:4 blgp:4// 000000003B78: D3AC6800 00022F21 D3AD0C84 8E138144
	v_mfma_scale_f32_16x16x128_f8f6f4 v[164:167], a[68:71], v[200:203], v[164:167], v33, v23 op_sel_hi:[0,0,0] cbsz:4 blgp:4// 000000003B88: D3AC7800 00022F21 D3AD0CA4 8E939144
	buffer_load_dwordx4 a[4:7], v53, s[24:27], 0 offen         // 000000003B98: E05C1000 80860435
	buffer_load_dword v31, v17, s[32:35], 0 offen              // 000000003BA0: E0501000 80081F11
	buffer_load_dword v32, v18, s[32:35], 0 offen              // 000000003BA8: E0501000 80082012
	s_waitcnt vmcnt(18)                                        // 000000003BB0: BF8C4F72
	v_mfma_scale_f32_16x16x128_f8f6f4 v[136:139], a[72:75], v[192:195], v[136:139], v34, v23 op_sel_hi:[0,0,0] cbsz:4 blgp:4// 000000003BB4: D3AC6000 00022F22 D3AD0C88 8E238148
	v_mfma_scale_f32_16x16x128_f8f6f4 v[168:171], a[72:75], v[200:203], v[168:171], v34, v23 op_sel_hi:[0,0,0] cbsz:4 blgp:4// 000000003BC4: D3AC7000 00022F22 D3AD0CA8 8EA39148
	buffer_load_dwordx4 a[8:11], v54, s[24:27], 0 offen        // 000000003BD4: E05C1000 80860836
	v_mfma_scale_f32_16x16x128_f8f6f4 v[140:143], a[76:79], v[192:195], v[140:143], v34, v23 op_sel_hi:[0,0,0] cbsz:4 blgp:4// 000000003BDC: D3AC6800 00022F22 D3AD0C8C 8E33814C
	v_mfma_scale_f32_16x16x128_f8f6f4 v[172:175], a[76:79], v[200:203], v[172:175], v34, v23 op_sel_hi:[0,0,0] cbsz:4 blgp:4// 000000003BEC: D3AC7800 00022F22 D3AD0CAC 8EB3914C
	buffer_load_dwordx4 a[12:15], v55, s[24:27], 0 offen       // 000000003BFC: E05C1000 80860C37
	s_waitcnt vmcnt(18)                                        // 000000003C04: BF8C4F72
	v_mfma_scale_f32_16x16x128_f8f6f4 v[144:147], a[80:83], v[192:195], v[144:147], v35, v23 op_sel_hi:[0,0,0] cbsz:4 blgp:4// 000000003C08: D3AC6000 00022F23 D3AD0C90 8E438150
	v_mfma_scale_f32_16x16x128_f8f6f4 v[176:179], a[80:83], v[200:203], v[176:179], v35, v23 op_sel_hi:[0,0,0] cbsz:4 blgp:4// 000000003C18: D3AC7000 00022F23 D3AD0CB0 8EC39150
	buffer_load_dwordx4 a[16:19], v56, s[24:27], 0 offen       // 000000003C28: E05C1000 80861038
	v_mfma_scale_f32_16x16x128_f8f6f4 v[148:151], a[84:87], v[192:195], v[148:151], v35, v23 op_sel_hi:[0,0,0] cbsz:4 blgp:4// 000000003C30: D3AC6800 00022F23 D3AD0C94 8E538154
	v_mfma_scale_f32_16x16x128_f8f6f4 v[180:183], a[84:87], v[200:203], v[180:183], v35, v23 op_sel_hi:[0,0,0] cbsz:4 blgp:4// 000000003C40: D3AC7800 00022F23 D3AD0CB4 8ED39154
	buffer_load_dwordx4 a[20:23], v57, s[24:27], 0 offen       // 000000003C50: E05C1000 80861439
	s_waitcnt vmcnt(18)                                        // 000000003C58: BF8C4F72
	v_mfma_scale_f32_16x16x128_f8f6f4 v[152:155], a[88:91], v[192:195], v[152:155], v36, v23 op_sel_hi:[0,0,0] cbsz:4 blgp:4// 000000003C5C: D3AC6000 00022F24 D3AD0C98 8E638158
	v_mfma_scale_f32_16x16x128_f8f6f4 v[184:187], a[88:91], v[200:203], v[184:187], v36, v23 op_sel_hi:[0,0,0] cbsz:4 blgp:4// 000000003C6C: D3AC7000 00022F24 D3AD0CB8 8EE39158
	buffer_load_dwordx4 a[24:27], v58, s[24:27], 0 offen       // 000000003C7C: E05C1000 8086183A
	v_mfma_scale_f32_16x16x128_f8f6f4 v[156:159], a[92:95], v[192:195], v[156:159], v36, v23 op_sel_hi:[0,0,0] cbsz:4 blgp:4// 000000003C84: D3AC6800 00022F24 D3AD0C9C 8E73815C
	v_mfma_scale_f32_16x16x128_f8f6f4 v[188:191], a[92:95], v[200:203], v[188:191], v36, v23 op_sel_hi:[0,0,0] cbsz:4 blgp:4// 000000003C94: D3AC7800 00022F24 D3AD0CBC 8EF3915C
	buffer_load_dwordx4 a[28:31], v59, s[24:27], 0 offen       // 000000003CA4: E05C1000 80861C3B
	s_waitcnt vmcnt(18)                                        // 000000003CAC: BF8C4F72
	v_mfma_scale_f32_16x16x128_f8f6f4 v[128:131], a[96:99], v[196:199], v[128:131], v33, v23 op_sel_hi:[0,0,0] cbsz:4 blgp:4// 000000003CB0: D3AC6000 18022F21 D3AD0C80 8E038960
	ds_read_b128 v[208:211], v6 offset:4224                    // 000000003CC0: D9FE1080 D0000006
	ds_read_b128 v[212:215], v6 offset:4288                    // 000000003CC8: D9FE10C0 D4000006
	v_mfma_scale_f32_16x16x128_f8f6f4 v[160:163], a[96:99], v[204:207], v[160:163], v33, v23 op_sel_hi:[0,0,0] cbsz:4 blgp:4// 000000003CD0: D3AC7000 18022F21 D3AD0CA0 8E839960
	buffer_load_dwordx4 a[32:35], v52, s[24:27], 0 offen offset:1024// 000000003CE0: E05C1400 80862034
	v_mfma_scale_f32_16x16x128_f8f6f4 v[132:135], a[100:103], v[196:199], v[132:135], v33, v23 op_sel_hi:[0,0,0] cbsz:4 blgp:4// 000000003CE8: D3AC6800 18022F21 D3AD0C84 8E138964
	ds_read_b128 v[216:219], v6 offset:4736                    // 000000003CF8: D9FE1280 D8000006
	ds_read_b128 v[220:223], v6 offset:4800                    // 000000003D00: D9FE12C0 DC000006
	v_mfma_scale_f32_16x16x128_f8f6f4 v[164:167], a[100:103], v[204:207], v[164:167], v33, v23 op_sel_hi:[0,0,0] cbsz:4 blgp:4// 000000003D08: D3AC7800 18022F21 D3AD0CA4 8E939964
	buffer_load_dwordx4 a[36:39], v53, s[24:27], 0 offen offset:1024// 000000003D18: E05C1400 80862435
	s_waitcnt vmcnt(18)                                        // 000000003D20: BF8C4F72
	v_mfma_scale_f32_16x16x128_f8f6f4 v[136:139], a[104:107], v[196:199], v[136:139], v34, v23 op_sel_hi:[0,0,0] cbsz:4 blgp:4// 000000003D24: D3AC6000 18022F22 D3AD0C88 8E238968
	v_mfma_scale_f32_16x16x128_f8f6f4 v[168:171], a[104:107], v[204:207], v[168:171], v34, v23 op_sel_hi:[0,0,0] cbsz:4 blgp:4// 000000003D34: D3AC7000 18022F22 D3AD0CA8 8EA39968
	buffer_load_dwordx4 a[40:43], v54, s[24:27], 0 offen offset:1024// 000000003D44: E05C1400 80862836
	v_mfma_scale_f32_16x16x128_f8f6f4 v[140:143], a[108:111], v[196:199], v[140:143], v34, v23 op_sel_hi:[0,0,0] cbsz:4 blgp:4// 000000003D4C: D3AC6800 18022F22 D3AD0C8C 8E33896C
	v_mfma_scale_f32_16x16x128_f8f6f4 v[172:175], a[108:111], v[204:207], v[172:175], v34, v23 op_sel_hi:[0,0,0] cbsz:4 blgp:4// 000000003D5C: D3AC7800 18022F22 D3AD0CAC 8EB3996C
	buffer_load_dwordx4 a[44:47], v55, s[24:27], 0 offen offset:1024// 000000003D6C: E05C1400 80862C37
	s_waitcnt vmcnt(18)                                        // 000000003D74: BF8C4F72
	v_mfma_scale_f32_16x16x128_f8f6f4 v[144:147], a[112:115], v[196:199], v[144:147], v35, v23 op_sel_hi:[0,0,0] cbsz:4 blgp:4// 000000003D78: D3AC6000 18022F23 D3AD0C90 8E438970
	v_mfma_scale_f32_16x16x128_f8f6f4 v[176:179], a[112:115], v[204:207], v[176:179], v35, v23 op_sel_hi:[0,0,0] cbsz:4 blgp:4// 000000003D88: D3AC7000 18022F23 D3AD0CB0 8EC39970
	buffer_load_dwordx4 a[48:51], v56, s[24:27], 0 offen offset:1024// 000000003D98: E05C1400 80863038
	v_mfma_scale_f32_16x16x128_f8f6f4 v[148:151], a[116:119], v[196:199], v[148:151], v35, v23 op_sel_hi:[0,0,0] cbsz:4 blgp:4// 000000003DA0: D3AC6800 18022F23 D3AD0C94 8E538974
	v_mfma_scale_f32_16x16x128_f8f6f4 v[180:183], a[116:119], v[204:207], v[180:183], v35, v23 op_sel_hi:[0,0,0] cbsz:4 blgp:4// 000000003DB0: D3AC7800 18022F23 D3AD0CB4 8ED39974
	buffer_load_dwordx4 a[52:55], v57, s[24:27], 0 offen offset:1024// 000000003DC0: E05C1400 80863439
	s_waitcnt vmcnt(18)                                        // 000000003DC8: BF8C4F72
	v_mfma_scale_f32_16x16x128_f8f6f4 v[152:155], a[120:123], v[196:199], v[152:155], v36, v23 op_sel_hi:[0,0,0] cbsz:4 blgp:4// 000000003DCC: D3AC6000 18022F24 D3AD0C98 8E638978
	v_mfma_scale_f32_16x16x128_f8f6f4 v[184:187], a[120:123], v[204:207], v[184:187], v36, v23 op_sel_hi:[0,0,0] cbsz:4 blgp:4// 000000003DDC: D3AC7000 18022F24 D3AD0CB8 8EE39978
	buffer_load_dwordx4 a[56:59], v58, s[24:27], 0 offen offset:1024// 000000003DEC: E05C1400 8086383A
	v_mfma_scale_f32_16x16x128_f8f6f4 v[156:159], a[124:127], v[196:199], v[156:159], v36, v23 op_sel_hi:[0,0,0] cbsz:4 blgp:4// 000000003DF4: D3AC6800 18022F24 D3AD0C9C 8E73897C
	v_mfma_scale_f32_16x16x128_f8f6f4 v[188:191], a[124:127], v[204:207], v[188:191], v36, v23 op_sel_hi:[0,0,0] cbsz:4 blgp:4// 000000003E04: D3AC7800 18022F24 D3AD0CBC 8EF3997C
	buffer_load_dwordx4 a[60:63], v59, s[24:27], 0 offen offset:1024// 000000003E14: E05C1400 80863C3B
	s_add_u32 s60, 0x200, s80                                  // 000000003E1C: 803C50FF 00000200
	s_cmp_lt_u32 s60, s81                                      // 000000003E24: BF0A513C
	s_cselect_b32 s57, s57, 0                                  // 000000003E28: 85398039
	s_cselect_b32 s3, s3, 0                                    // 000000003E2C: 85038003
	s_add_u32 s60, 0x200, s80                                  // 000000003E30: 803C50FF 00000200
	s_cmp_lt_u32 s60, s81                                      // 000000003E38: BF0A513C
	s_cselect_b32 s58, s58, 0                                  // 000000003E3C: 853A803A
	s_add_u32 s20, s57, s20                                    // 000000003E40: 80141439
	s_addc_u32 s21, 0, s21                                     // 000000003E44: 82151580
	s_add_u32 s28, s3, s28                                     // 000000003E48: 801C1C03
	s_addc_u32 s29, 0, s29                                     // 000000003E4C: 821D1D80
	s_add_u32 s24, s58, s24                                    // 000000003E50: 8018183A
	s_addc_u32 s25, 0, s25                                     // 000000003E54: 82191980
	s_add_u32 s92, s90, s92                                    // 000000003E58: 805C5C5A
	s_addc_u32 s93, 0, s93                                     // 000000003E5C: 825D5D80
	s_addk_i32 s80, 0x100                                      // 000000003E60: B7500100
	s_cmp_lt_i32 s80, s81                                      // 000000003E64: BF045150
	s_cbranch_scc0 label_05A6                                  // 000000003E68: BF84018B
	s_waitcnt vmcnt(14) lgkmcnt(0)                             // 000000003E6C: BF8C007E
	s_barrier                                                  // 000000003E70: BF8A0000
	v_mfma_scale_f32_16x16x128_f8f6f4 v[64:67], a[0:3], v[208:211], v[64:67], v29, v24 op_sel_hi:[0,0,0] cbsz:4 blgp:4// 000000003E74: D3AC6000 0002311D D3AD0C40 8D03A100
	v_mfma_scale_f32_16x16x128_f8f6f4 v[96:99], a[0:3], v[216:219], v[96:99], v29, v24 op_sel_hi:[0,0,0] cbsz:4 blgp:4// 000000003E84: D3AC7000 0002311D D3AD0C60 8D83B100
	buffer_load_dwordx4 a[64:67], v52, s[92:95], 0 offen       // 000000003E94: E05C1000 80974034
	buffer_load_dwordx4 v51, s[20:23], 0 offen lds             // 000000003E9C: E05D1000 80050033
	s_add_u32 m0, 0, s51                                       // 000000003EA4: 807C3380
	v_mfma_scale_f32_16x16x128_f8f6f4 v[68:71], a[4:7], v[208:211], v[68:71], v29, v24 op_sel_hi:[0,0,0] cbsz:4 blgp:4// 000000003EA8: D3AC6800 0002311D D3AD0C44 8D13A104
	v_mfma_scale_f32_16x16x128_f8f6f4 v[100:103], a[4:7], v[216:219], v[100:103], v29, v24 op_sel_hi:[0,0,0] cbsz:4 blgp:4// 000000003EB8: D3AC7800 0002311D D3AD0C64 8D93B104
	buffer_load_dwordx4 a[68:71], v53, s[92:95], 0 offen       // 000000003EC8: E05C1000 80974435
	buffer_load_dword v23, v12, s[28:31], 0 offen              // 000000003ED0: E0501000 8007170C
	buffer_load_dword v37, v19, s[32:35], 0 offen              // 000000003ED8: E0501000 80082513
	buffer_load_dword v38, v20, s[32:35], 0 offen              // 000000003EE0: E0501000 80082614
	buffer_load_dword v39, v21, s[32:35], 0 offen              // 000000003EE8: E0501000 80082715
	buffer_load_dword v40, v22, s[32:35], 0 offen              // 000000003EF0: E0501000 80082816
	s_waitcnt vmcnt(20)                                        // 000000003EF8: BF8C4F74
	v_mfma_scale_f32_16x16x128_f8f6f4 v[72:75], a[8:11], v[208:211], v[72:75], v30, v24 op_sel_hi:[0,0,0] cbsz:4 blgp:4// 000000003EFC: D3AC6000 0002311E D3AD0C48 8D23A108
	v_mfma_scale_f32_16x16x128_f8f6f4 v[104:107], a[8:11], v[216:219], v[104:107], v30, v24 op_sel_hi:[0,0,0] cbsz:4 blgp:4// 000000003F0C: D3AC7000 0002311E D3AD0C68 8DA3B108
	buffer_load_dwordx4 a[72:75], v54, s[92:95], 0 offen       // 000000003F1C: E05C1000 80974836
	v_mfma_scale_f32_16x16x128_f8f6f4 v[76:79], a[12:15], v[208:211], v[76:79], v30, v24 op_sel_hi:[0,0,0] cbsz:4 blgp:4// 000000003F24: D3AC6800 0002311E D3AD0C4C 8D33A10C
	v_mfma_scale_f32_16x16x128_f8f6f4 v[108:111], a[12:15], v[216:219], v[108:111], v30, v24 op_sel_hi:[0,0,0] cbsz:4 blgp:4// 000000003F34: D3AC7800 0002311E D3AD0C6C 8DB3B10C
	buffer_load_dwordx4 a[76:79], v55, s[92:95], 0 offen       // 000000003F44: E05C1000 80974C37
	s_waitcnt vmcnt(20)                                        // 000000003F4C: BF8C4F74
	v_mfma_scale_f32_16x16x128_f8f6f4 v[80:83], a[16:19], v[208:211], v[80:83], v31, v24 op_sel_hi:[0,0,0] cbsz:4 blgp:4// 000000003F50: D3AC6000 0002311F D3AD0C50 8D43A110
	v_mfma_scale_f32_16x16x128_f8f6f4 v[112:115], a[16:19], v[216:219], v[112:115], v31, v24 op_sel_hi:[0,0,0] cbsz:4 blgp:4// 000000003F60: D3AC7000 0002311F D3AD0C70 8DC3B110
	buffer_load_dwordx4 a[80:83], v56, s[92:95], 0 offen       // 000000003F70: E05C1000 80975038
	v_mfma_scale_f32_16x16x128_f8f6f4 v[84:87], a[20:23], v[208:211], v[84:87], v31, v24 op_sel_hi:[0,0,0] cbsz:4 blgp:4// 000000003F78: D3AC6800 0002311F D3AD0C54 8D53A114
	v_mfma_scale_f32_16x16x128_f8f6f4 v[116:119], a[20:23], v[216:219], v[116:119], v31, v24 op_sel_hi:[0,0,0] cbsz:4 blgp:4// 000000003F88: D3AC7800 0002311F D3AD0C74 8DD3B114
	buffer_load_dwordx4 a[84:87], v57, s[92:95], 0 offen       // 000000003F98: E05C1000 80975439
	s_waitcnt vmcnt(20)                                        // 000000003FA0: BF8C4F74
	v_mfma_scale_f32_16x16x128_f8f6f4 v[88:91], a[24:27], v[208:211], v[88:91], v32, v24 op_sel_hi:[0,0,0] cbsz:4 blgp:4// 000000003FA4: D3AC6000 00023120 D3AD0C58 8D63A118
	v_mfma_scale_f32_16x16x128_f8f6f4 v[120:123], a[24:27], v[216:219], v[120:123], v32, v24 op_sel_hi:[0,0,0] cbsz:4 blgp:4// 000000003FB4: D3AC7000 00023120 D3AD0C78 8DE3B118
	buffer_load_dwordx4 a[88:91], v58, s[92:95], 0 offen       // 000000003FC4: E05C1000 8097583A
	v_mfma_scale_f32_16x16x128_f8f6f4 v[92:95], a[28:31], v[208:211], v[92:95], v32, v24 op_sel_hi:[0,0,0] cbsz:4 blgp:4// 000000003FCC: D3AC6800 00023120 D3AD0C5C 8D73A11C
	v_mfma_scale_f32_16x16x128_f8f6f4 v[124:127], a[28:31], v[216:219], v[124:127], v32, v24 op_sel_hi:[0,0,0] cbsz:4 blgp:4// 000000003FDC: D3AC7800 00023120 D3AD0C7C 8DF3B11C
	buffer_load_dwordx4 a[92:95], v59, s[92:95], 0 offen       // 000000003FEC: E05C1000 80975C3B
	s_nop 0                                                    // 000000003FF4: BF800000
	s_waitcnt vmcnt(20)                                        // 000000003FF8: BF8C4F74
	v_mfma_scale_f32_16x16x128_f8f6f4 v[64:67], a[32:35], v[212:215], v[64:67], v29, v24 op_sel_hi:[0,0,0] cbsz:4 blgp:4// 000000003FFC: D3AC4000 1802311D D3AD0C40 8D03A920
	v_mfma_scale_f32_16x16x128_f8f6f4 v[96:99], a[32:35], v[220:223], v[96:99], v29, v24 op_sel_hi:[0,0,0] cbsz:4 blgp:4// 00000000400C: D3AC3000 1802311D D3AD0C60 8D83B920
	buffer_load_dwordx4 a[96:99], v52, s[92:95], 0 offen offset:1024// 00000000401C: E05C1400 80976034
	v_mfma_scale_f32_16x16x128_f8f6f4 v[68:71], a[36:39], v[212:215], v[68:71], v29, v24 op_sel_hi:[0,0,0] cbsz:4 blgp:4// 000000004024: D3AC6800 1802311D D3AD0C44 8D13A924
	v_mfma_scale_f32_16x16x128_f8f6f4 v[100:103], a[36:39], v[220:223], v[100:103], v29, v24 op_sel_hi:[0,0,0] cbsz:4 blgp:4// 000000004034: D3AC7800 1802311D D3AD0C64 8D93B924
	buffer_load_dwordx4 a[100:103], v53, s[92:95], 0 offen offset:1024// 000000004044: E05C1400 80976435
	s_waitcnt vmcnt(20)                                        // 00000000404C: BF8C4F74
	v_mfma_scale_f32_16x16x128_f8f6f4 v[72:75], a[40:43], v[212:215], v[72:75], v30, v24 op_sel_hi:[0,0,0] cbsz:4 blgp:4// 000000004050: D3AC6000 1802311E D3AD0C48 8D23A928
	v_mfma_scale_f32_16x16x128_f8f6f4 v[104:107], a[40:43], v[220:223], v[104:107], v30, v24 op_sel_hi:[0,0,0] cbsz:4 blgp:4// 000000004060: D3AC7000 1802311E D3AD0C68 8DA3B928
	buffer_load_dwordx4 a[104:107], v54, s[92:95], 0 offen offset:1024// 000000004070: E05C1400 80976836
	v_mfma_scale_f32_16x16x128_f8f6f4 v[76:79], a[44:47], v[212:215], v[76:79], v30, v24 op_sel_hi:[0,0,0] cbsz:4 blgp:4// 000000004078: D3AC6800 1802311E D3AD0C4C 8D33A92C
	v_mfma_scale_f32_16x16x128_f8f6f4 v[108:111], a[44:47], v[220:223], v[108:111], v30, v24 op_sel_hi:[0,0,0] cbsz:4 blgp:4// 000000004088: D3AC7800 1802311E D3AD0C6C 8DB3B92C
	buffer_load_dwordx4 a[108:111], v55, s[92:95], 0 offen offset:1024// 000000004098: E05C1400 80976C37
	s_waitcnt vmcnt(20)                                        // 0000000040A0: BF8C4F74
	v_mfma_scale_f32_16x16x128_f8f6f4 v[80:83], a[48:51], v[212:215], v[80:83], v31, v24 op_sel_hi:[0,0,0] cbsz:4 blgp:4// 0000000040A4: D3AC6000 1802311F D3AD0C50 8D43A930
	v_mfma_scale_f32_16x16x128_f8f6f4 v[112:115], a[48:51], v[220:223], v[112:115], v31, v24 op_sel_hi:[0,0,0] cbsz:4 blgp:4// 0000000040B4: D3AC7000 1802311F D3AD0C70 8DC3B930
	buffer_load_dwordx4 a[112:115], v56, s[92:95], 0 offen offset:1024// 0000000040C4: E05C1400 80977038
	v_mfma_scale_f32_16x16x128_f8f6f4 v[84:87], a[52:55], v[212:215], v[84:87], v31, v24 op_sel_hi:[0,0,0] cbsz:4 blgp:4// 0000000040CC: D3AC6800 1802311F D3AD0C54 8D53A934
	v_mfma_scale_f32_16x16x128_f8f6f4 v[116:119], a[52:55], v[220:223], v[116:119], v31, v24 op_sel_hi:[0,0,0] cbsz:4 blgp:4// 0000000040DC: D3AC7800 1802311F D3AD0C74 8DD3B934
	buffer_load_dwordx4 a[116:119], v57, s[92:95], 0 offen offset:1024// 0000000040EC: E05C1400 80977439
	s_waitcnt vmcnt(20)                                        // 0000000040F4: BF8C4F74
	v_mfma_scale_f32_16x16x128_f8f6f4 v[88:91], a[56:59], v[212:215], v[88:91], v32, v24 op_sel_hi:[0,0,0] cbsz:4 blgp:4// 0000000040F8: D3AC6000 18023120 D3AD0C58 8D63A938
	v_mfma_scale_f32_16x16x128_f8f6f4 v[120:123], a[56:59], v[220:223], v[120:123], v32, v24 op_sel_hi:[0,0,0] cbsz:4 blgp:4// 000000004108: D3AC7000 18023120 D3AD0C78 8DE3B938
	buffer_load_dwordx4 a[120:123], v58, s[92:95], 0 offen offset:1024// 000000004118: E05C1400 8097783A
	v_mfma_scale_f32_16x16x128_f8f6f4 v[92:95], a[60:63], v[212:215], v[92:95], v32, v24 op_sel_hi:[0,0,0] cbsz:4 blgp:4// 000000004120: D3AC6800 18023120 D3AD0C5C 8D73A93C
	v_mfma_scale_f32_16x16x128_f8f6f4 v[124:127], a[60:63], v[220:223], v[124:127], v32, v24 op_sel_hi:[0,0,0] cbsz:4 blgp:4// 000000004130: D3AC5800 18023120 D3AD0C7C 8DF3B93C
	buffer_load_dwordx4 a[124:127], v59, s[92:95], 0 offen offset:1024// 000000004140: E05C1400 80977C3B
	s_add_u32 s60, 0x100, s80                                  // 000000004148: 803C50FF 00000100
	s_cmp_lt_u32 s60, s81                                      // 000000004150: BF0A513C
	s_cselect_b32 s4, s4, 0                                    // 000000004154: 85048004
	s_add_u32 s32, s4, s32                                     // 000000004158: 80202004
	s_addc_u32 s33, 0, s33                                     // 00000000415C: 82212180
	s_waitcnt vmcnt(14)                                        // 000000004160: BF8C0F7E
	s_barrier                                                  // 000000004164: BF8A0000
	v_mfma_scale_f32_16x16x128_f8f6f4 v[128:131], a[64:67], v[208:211], v[128:131], v37, v24 op_sel_hi:[0,0,0] cbsz:4 blgp:4// 000000004168: D3AC6000 00023125 D3AD0C80 8E03A140
	v_mfma_scale_f32_16x16x128_f8f6f4 v[160:163], a[64:67], v[216:219], v[160:163], v37, v24 op_sel_hi:[0,0,0] cbsz:4 blgp:4// 000000004178: D3AC7000 00023125 D3AD0CA0 8E83B140
	buffer_load_dwordx4 a[0:3], v52, s[24:27], 0 offen         // 000000004188: E05C1000 80860034
	buffer_load_dword v25, v15, s[32:35], 0 offen              // 000000004190: E0501000 8008190F
	buffer_load_dword v26, v16, s[32:35], 0 offen              // 000000004198: E0501000 80081A10
	v_mfma_scale_f32_16x16x128_f8f6f4 v[132:135], a[68:71], v[208:211], v[132:135], v37, v24 op_sel_hi:[0,0,0] cbsz:4 blgp:4// 0000000041A0: D3AC6800 00023125 D3AD0C84 8E13A144
	v_mfma_scale_f32_16x16x128_f8f6f4 v[164:167], a[68:71], v[216:219], v[164:167], v37, v24 op_sel_hi:[0,0,0] cbsz:4 blgp:4// 0000000041B0: D3AC7800 00023125 D3AD0CA4 8E93B144
	buffer_load_dwordx4 a[4:7], v53, s[24:27], 0 offen         // 0000000041C0: E05C1000 80860435
	buffer_load_dword v27, v17, s[32:35], 0 offen              // 0000000041C8: E0501000 80081B11
	buffer_load_dword v28, v18, s[32:35], 0 offen              // 0000000041D0: E0501000 80081C12
	s_waitcnt vmcnt(18)                                        // 0000000041D8: BF8C4F72
	v_mfma_scale_f32_16x16x128_f8f6f4 v[136:139], a[72:75], v[208:211], v[136:139], v38, v24 op_sel_hi:[0,0,0] cbsz:4 blgp:4// 0000000041DC: D3AC6000 00023126 D3AD0C88 8E23A148
	v_mfma_scale_f32_16x16x128_f8f6f4 v[168:171], a[72:75], v[216:219], v[168:171], v38, v24 op_sel_hi:[0,0,0] cbsz:4 blgp:4// 0000000041EC: D3AC7000 00023126 D3AD0CA8 8EA3B148
	buffer_load_dwordx4 a[8:11], v54, s[24:27], 0 offen        // 0000000041FC: E05C1000 80860836
	v_mfma_scale_f32_16x16x128_f8f6f4 v[140:143], a[76:79], v[208:211], v[140:143], v38, v24 op_sel_hi:[0,0,0] cbsz:4 blgp:4// 000000004204: D3AC6800 00023126 D3AD0C8C 8E33A14C
	v_mfma_scale_f32_16x16x128_f8f6f4 v[172:175], a[76:79], v[216:219], v[172:175], v38, v24 op_sel_hi:[0,0,0] cbsz:4 blgp:4// 000000004214: D3AC7800 00023126 D3AD0CAC 8EB3B14C
	buffer_load_dwordx4 a[12:15], v55, s[24:27], 0 offen       // 000000004224: E05C1000 80860C37
	s_waitcnt vmcnt(18)                                        // 00000000422C: BF8C4F72
	v_mfma_scale_f32_16x16x128_f8f6f4 v[144:147], a[80:83], v[208:211], v[144:147], v39, v24 op_sel_hi:[0,0,0] cbsz:4 blgp:4// 000000004230: D3AC6000 00023127 D3AD0C90 8E43A150
	v_mfma_scale_f32_16x16x128_f8f6f4 v[176:179], a[80:83], v[216:219], v[176:179], v39, v24 op_sel_hi:[0,0,0] cbsz:4 blgp:4// 000000004240: D3AC7000 00023127 D3AD0CB0 8EC3B150
	buffer_load_dwordx4 a[16:19], v56, s[24:27], 0 offen       // 000000004250: E05C1000 80861038
	v_mfma_scale_f32_16x16x128_f8f6f4 v[148:151], a[84:87], v[208:211], v[148:151], v39, v24 op_sel_hi:[0,0,0] cbsz:4 blgp:4// 000000004258: D3AC6800 00023127 D3AD0C94 8E53A154
	v_mfma_scale_f32_16x16x128_f8f6f4 v[180:183], a[84:87], v[216:219], v[180:183], v39, v24 op_sel_hi:[0,0,0] cbsz:4 blgp:4// 000000004268: D3AC7800 00023127 D3AD0CB4 8ED3B154
	buffer_load_dwordx4 a[20:23], v57, s[24:27], 0 offen       // 000000004278: E05C1000 80861439
	s_waitcnt vmcnt(18)                                        // 000000004280: BF8C4F72
	v_mfma_scale_f32_16x16x128_f8f6f4 v[152:155], a[88:91], v[208:211], v[152:155], v40, v24 op_sel_hi:[0,0,0] cbsz:4 blgp:4// 000000004284: D3AC6000 00023128 D3AD0C98 8E63A158
	v_mfma_scale_f32_16x16x128_f8f6f4 v[184:187], a[88:91], v[216:219], v[184:187], v40, v24 op_sel_hi:[0,0,0] cbsz:4 blgp:4// 000000004294: D3AC7000 00023128 D3AD0CB8 8EE3B158
	buffer_load_dwordx4 a[24:27], v58, s[24:27], 0 offen       // 0000000042A4: E05C1000 8086183A
	v_mfma_scale_f32_16x16x128_f8f6f4 v[156:159], a[92:95], v[208:211], v[156:159], v40, v24 op_sel_hi:[0,0,0] cbsz:4 blgp:4// 0000000042AC: D3AC6800 00023128 D3AD0C9C 8E73A15C
	v_mfma_scale_f32_16x16x128_f8f6f4 v[188:191], a[92:95], v[216:219], v[188:191], v40, v24 op_sel_hi:[0,0,0] cbsz:4 blgp:4// 0000000042BC: D3AC7800 00023128 D3AD0CBC 8EF3B15C
	buffer_load_dwordx4 a[28:31], v59, s[24:27], 0 offen       // 0000000042CC: E05C1000 80861C3B
	s_waitcnt vmcnt(18)                                        // 0000000042D4: BF8C4F72
	v_mfma_scale_f32_16x16x128_f8f6f4 v[128:131], a[96:99], v[212:215], v[128:131], v37, v24 op_sel_hi:[0,0,0] cbsz:4 blgp:4// 0000000042D8: D3AC6000 18023125 D3AD0C80 8E03A960
	ds_read_b128 v[192:195], v6                                // 0000000042E8: D9FE0000 C0000006
	ds_read_b128 v[196:199], v6 offset:64                      // 0000000042F0: D9FE0040 C4000006
	v_mfma_scale_f32_16x16x128_f8f6f4 v[160:163], a[96:99], v[220:223], v[160:163], v37, v24 op_sel_hi:[0,0,0] cbsz:4 blgp:4// 0000000042F8: D3AC7000 18023125 D3AD0CA0 8E83B960
	buffer_load_dwordx4 a[32:35], v52, s[24:27], 0 offen offset:1024// 000000004308: E05C1400 80862034
	v_mfma_scale_f32_16x16x128_f8f6f4 v[132:135], a[100:103], v[212:215], v[132:135], v37, v24 op_sel_hi:[0,0,0] cbsz:4 blgp:4// 000000004310: D3AC6800 18023125 D3AD0C84 8E13A964
	ds_read_b128 v[200:203], v6 offset:512                     // 000000004320: D9FE0200 C8000006
	ds_read_b128 v[204:207], v6 offset:576                     // 000000004328: D9FE0240 CC000006
	v_mfma_scale_f32_16x16x128_f8f6f4 v[164:167], a[100:103], v[220:223], v[164:167], v37, v24 op_sel_hi:[0,0,0] cbsz:4 blgp:4// 000000004330: D3AC7800 18023125 D3AD0CA4 8E93B964
	buffer_load_dwordx4 a[36:39], v53, s[24:27], 0 offen offset:1024// 000000004340: E05C1400 80862435
	s_waitcnt vmcnt(18)                                        // 000000004348: BF8C4F72
	v_mfma_scale_f32_16x16x128_f8f6f4 v[136:139], a[104:107], v[212:215], v[136:139], v38, v24 op_sel_hi:[0,0,0] cbsz:4 blgp:4// 00000000434C: D3AC6000 18023126 D3AD0C88 8E23A968
	v_mfma_scale_f32_16x16x128_f8f6f4 v[168:171], a[104:107], v[220:223], v[168:171], v38, v24 op_sel_hi:[0,0,0] cbsz:4 blgp:4// 00000000435C: D3AC7000 18023126 D3AD0CA8 8EA3B968
	buffer_load_dwordx4 a[40:43], v54, s[24:27], 0 offen offset:1024// 00000000436C: E05C1400 80862836
	v_mfma_scale_f32_16x16x128_f8f6f4 v[140:143], a[108:111], v[212:215], v[140:143], v38, v24 op_sel_hi:[0,0,0] cbsz:4 blgp:4// 000000004374: D3AC6800 18023126 D3AD0C8C 8E33A96C
	v_mfma_scale_f32_16x16x128_f8f6f4 v[172:175], a[108:111], v[220:223], v[172:175], v38, v24 op_sel_hi:[0,0,0] cbsz:4 blgp:4// 000000004384: D3AC7800 18023126 D3AD0CAC 8EB3B96C
	buffer_load_dwordx4 a[44:47], v55, s[24:27], 0 offen offset:1024// 000000004394: E05C1400 80862C37
	s_waitcnt vmcnt(18)                                        // 00000000439C: BF8C4F72
	v_mfma_scale_f32_16x16x128_f8f6f4 v[144:147], a[112:115], v[212:215], v[144:147], v39, v24 op_sel_hi:[0,0,0] cbsz:4 blgp:4// 0000000043A0: D3AC6000 18023127 D3AD0C90 8E43A970
	v_mfma_scale_f32_16x16x128_f8f6f4 v[176:179], a[112:115], v[220:223], v[176:179], v39, v24 op_sel_hi:[0,0,0] cbsz:4 blgp:4// 0000000043B0: D3AC7000 18023127 D3AD0CB0 8EC3B970
	buffer_load_dwordx4 a[48:51], v56, s[24:27], 0 offen offset:1024// 0000000043C0: E05C1400 80863038
	v_mfma_scale_f32_16x16x128_f8f6f4 v[148:151], a[116:119], v[212:215], v[148:151], v39, v24 op_sel_hi:[0,0,0] cbsz:4 blgp:4// 0000000043C8: D3AC6800 18023127 D3AD0C94 8E53A974
	v_mfma_scale_f32_16x16x128_f8f6f4 v[180:183], a[116:119], v[220:223], v[180:183], v39, v24 op_sel_hi:[0,0,0] cbsz:4 blgp:4// 0000000043D8: D3AC7800 18023127 D3AD0CB4 8ED3B974
	buffer_load_dwordx4 a[52:55], v57, s[24:27], 0 offen offset:1024// 0000000043E8: E05C1400 80863439
	s_waitcnt vmcnt(18)                                        // 0000000043F0: BF8C4F72
	v_mfma_scale_f32_16x16x128_f8f6f4 v[152:155], a[120:123], v[212:215], v[152:155], v40, v24 op_sel_hi:[0,0,0] cbsz:4 blgp:4// 0000000043F4: D3AC6000 18023128 D3AD0C98 8E63A978
	v_mfma_scale_f32_16x16x128_f8f6f4 v[184:187], a[120:123], v[220:223], v[184:187], v40, v24 op_sel_hi:[0,0,0] cbsz:4 blgp:4// 000000004404: D3AC7000 18023128 D3AD0CB8 8EE3B978
	buffer_load_dwordx4 a[56:59], v58, s[24:27], 0 offen offset:1024// 000000004414: E05C1400 8086383A
	v_mfma_scale_f32_16x16x128_f8f6f4 v[156:159], a[124:127], v[212:215], v[156:159], v40, v24 op_sel_hi:[0,0,0] cbsz:4 blgp:4// 00000000441C: D3AC6800 18023128 D3AD0C9C 8E73A97C
	v_mfma_scale_f32_16x16x128_f8f6f4 v[188:191], a[124:127], v[220:223], v[188:191], v40, v24 op_sel_hi:[0,0,0] cbsz:4 blgp:4// 00000000442C: D3AC7800 18023128 D3AD0CBC 8EF3B97C
	buffer_load_dwordx4 a[60:63], v59, s[24:27], 0 offen offset:1024// 00000000443C: E05C1400 80863C3B
	s_add_u32 s60, 0x200, s80                                  // 000000004444: 803C50FF 00000200
	s_cmp_lt_u32 s60, s81                                      // 00000000444C: BF0A513C
	s_cselect_b32 s57, s57, 0                                  // 000000004450: 85398039
	s_cselect_b32 s3, s3, 0                                    // 000000004454: 85038003
	s_add_u32 s60, 0x200, s80                                  // 000000004458: 803C50FF 00000200
	s_cmp_lt_u32 s60, s81                                      // 000000004460: BF0A513C
	s_cselect_b32 s58, s58, 0                                  // 000000004464: 853A803A
	s_add_u32 s20, s57, s20                                    // 000000004468: 80141439
	s_addc_u32 s21, 0, s21                                     // 00000000446C: 82151580
	s_add_u32 s28, s3, s28                                     // 000000004470: 801C1C03
	s_addc_u32 s29, 0, s29                                     // 000000004474: 821D1D80
	s_add_u32 s24, s58, s24                                    // 000000004478: 8018183A
	s_addc_u32 s25, 0, s25                                     // 00000000447C: 82191980
	s_add_u32 s92, s90, s92                                    // 000000004480: 805C5C5A
	s_addc_u32 s93, 0, s93                                     // 000000004484: 825D5D80
	s_addk_i32 s80, 0x100                                      // 000000004488: B7500100
	s_cmp_lt_i32 s80, s81                                      // 00000000448C: BF045150
	s_cbranch_scc0 label_05A6                                  // 000000004490: BF840001
	s_branch label_0291                                        // 000000004494: BF82FCEB

0000000000004498 <label_05A6>:
	s_mov_b32 s36, -1                                          // 000000004498: BEA400C1
	s_mov_b32 s37, -1                                          // 00000000449C: BEA500C1
	s_mov_b64 s[60:61], 0                                      // 0000000044A0: BEBC0180
	s_cmp_lt_u32 s82, s66                                      // 0000000044A4: BF0A4252
	s_cselect_b64 s[20:21], s[36:37], s[60:61]                 // 0000000044A8: 85943C24
	s_cmp_lt_u32 s83, s66                                      // 0000000044AC: BF0A4253
	s_cselect_b64 s[22:23], s[36:37], s[60:61]                 // 0000000044B0: 85963C24
	s_cmp_lt_u32 s84, s66                                      // 0000000044B4: BF0A4254
	s_cselect_b64 s[24:25], s[36:37], s[60:61]                 // 0000000044B8: 85983C24
	s_cmp_lt_u32 s85, s66                                      // 0000000044BC: BF0A4255
	s_cselect_b64 s[26:27], s[36:37], s[60:61]                 // 0000000044C0: 859A3C24
	s_cmp_lt_u32 s86, s66                                      // 0000000044C4: BF0A4256
	s_cselect_b64 s[28:29], s[36:37], s[60:61]                 // 0000000044C8: 859C3C24
	s_cmp_lt_u32 s87, s66                                      // 0000000044CC: BF0A4257
	s_cselect_b64 s[30:31], s[36:37], s[60:61]                 // 0000000044D0: 859E3C24
	s_cmp_lt_u32 s88, s66                                      // 0000000044D4: BF0A4258
	s_cselect_b64 s[32:33], s[36:37], s[60:61]                 // 0000000044D8: 85A03C24
	s_cmp_lt_u32 s89, s66                                      // 0000000044DC: BF0A4259
	s_cselect_b64 s[34:35], s[36:37], s[60:61]                 // 0000000044E0: 85A23C24
	v_mov_b32_e32 v1, 0xbfcc4231                               // 0000000044E4: 7E0202FF BFCC4231
	s_waitcnt vmcnt(14)                                        // 0000000044EC: BF8C0F7E
	buffer_load_dwordx4 a[0:3], v60, s[12:15], 0 offen         // 0000000044F0: E05C1000 8083003C
	v_mul_f32_e64 v2, -v64, s6                                 // 0000000044F8: D1050002 20000D40
	v_mul_f32_e64 v3, -v65, s6                                 // 000000004500: D1050003 20000D41
	v_mul_f32_e64 v4, -v66, s6                                 // 000000004508: D1050004 20000D42
	v_mul_f32_e64 v5, -v67, s6                                 // 000000004510: D1050005 20000D43
	v_exp_f32_e32 v2, v2                                       // 000000004518: 7E044102
	v_exp_f32_e32 v3, v3                                       // 00000000451C: 7E064103
	v_exp_f32_e32 v4, v4                                       // 000000004520: 7E084104
	v_exp_f32_e32 v5, v5                                       // 000000004524: 7E0A4105
	buffer_load_dwordx4 a[4:7], v61, s[12:15], 0 offen         // 000000004528: E05C1000 8083043D
	v_add_f32_e64 v2, v2, 1.0                                  // 000000004530: D1010002 0001E502
	v_add_f32_e64 v3, v3, 1.0                                  // 000000004538: D1010003 0001E503
	v_add_f32_e64 v4, v4, 1.0                                  // 000000004540: D1010004 0001E504
	v_add_f32_e64 v5, v5, 1.0                                  // 000000004548: D1010005 0001E505
	v_rcp_f32_e32 v2, v2                                       // 000000004550: 7E044502
	v_rcp_f32_e32 v3, v3                                       // 000000004554: 7E064503
	v_rcp_f32_e32 v4, v4                                       // 000000004558: 7E084504
	v_rcp_f32_e32 v5, v5                                       // 00000000455C: 7E0A4505
	v_mul_f32_e32 v64, v64, v2                                 // 000000004560: 0A800540
	v_mul_f32_e32 v65, v65, v3                                 // 000000004564: 0A820741
	v_mul_f32_e32 v66, v66, v4                                 // 000000004568: 0A840942
	v_mul_f32_e32 v67, v67, v5                                 // 00000000456C: 0A860B43
	v_mul_f32_e32 v64, v64, v128                               // 000000004570: 0A810140
	v_mul_f32_e32 v65, v65, v129                               // 000000004574: 0A830341
	v_mul_f32_e32 v66, v66, v130                               // 000000004578: 0A850542
	v_mul_f32_e32 v67, v67, v131                               // 00000000457C: 0A870743
	s_waitcnt vmcnt(14)                                        // 000000004580: BF8C0F7E
	buffer_load_dwordx4 a[8:11], v62, s[12:15], 0 offen        // 000000004584: E05C1000 8083083E
	v_mul_f32_e64 v2, -v68, s6                                 // 00000000458C: D1050002 20000D44
	v_mul_f32_e64 v3, -v69, s6                                 // 000000004594: D1050003 20000D45
	v_mul_f32_e64 v4, -v70, s6                                 // 00000000459C: D1050004 20000D46
	v_mul_f32_e64 v5, -v71, s6                                 // 0000000045A4: D1050005 20000D47
	v_exp_f32_e32 v2, v2                                       // 0000000045AC: 7E044102
	v_exp_f32_e32 v3, v3                                       // 0000000045B0: 7E064103
	v_exp_f32_e32 v4, v4                                       // 0000000045B4: 7E084104
	v_exp_f32_e32 v5, v5                                       // 0000000045B8: 7E0A4105
	buffer_load_dwordx4 a[12:15], v63, s[12:15], 0 offen       // 0000000045BC: E05C1000 80830C3F
	v_add_f32_e64 v2, v2, 1.0                                  // 0000000045C4: D1010002 0001E502
	v_add_f32_e64 v3, v3, 1.0                                  // 0000000045CC: D1010003 0001E503
	v_add_f32_e64 v4, v4, 1.0                                  // 0000000045D4: D1010004 0001E504
	v_add_f32_e64 v5, v5, 1.0                                  // 0000000045DC: D1010005 0001E505
	v_rcp_f32_e32 v2, v2                                       // 0000000045E4: 7E044502
	v_rcp_f32_e32 v3, v3                                       // 0000000045E8: 7E064503
	v_rcp_f32_e32 v4, v4                                       // 0000000045EC: 7E084504
	v_rcp_f32_e32 v5, v5                                       // 0000000045F0: 7E0A4505
	v_mul_f32_e32 v68, v68, v2                                 // 0000000045F4: 0A880544
	v_mul_f32_e32 v69, v69, v3                                 // 0000000045F8: 0A8A0745
	v_mul_f32_e32 v70, v70, v4                                 // 0000000045FC: 0A8C0946
	v_mul_f32_e32 v71, v71, v5                                 // 000000004600: 0A8E0B47
	v_mul_f32_e32 v68, v68, v132                               // 000000004604: 0A890944
	v_mul_f32_e32 v69, v69, v133                               // 000000004608: 0A8B0B45
	v_mul_f32_e32 v70, v70, v134                               // 00000000460C: 0A8D0D46
	v_mul_f32_e32 v71, v71, v135                               // 000000004610: 0A8F0F47
	s_waitcnt vmcnt(14)                                        // 000000004614: BF8C0F7E
	buffer_load_dwordx4 a[16:19], v60, s[12:15], 0 offen offset:1024// 000000004618: E05C1400 8083103C
	v_mul_f32_e64 v2, -v72, s6                                 // 000000004620: D1050002 20000D48
	v_mul_f32_e64 v3, -v73, s6                                 // 000000004628: D1050003 20000D49
	v_mul_f32_e64 v4, -v74, s6                                 // 000000004630: D1050004 20000D4A
	v_mul_f32_e64 v5, -v75, s6                                 // 000000004638: D1050005 20000D4B
	v_exp_f32_e32 v2, v2                                       // 000000004640: 7E044102
	v_exp_f32_e32 v3, v3                                       // 000000004644: 7E064103
	v_exp_f32_e32 v4, v4                                       // 000000004648: 7E084104
	v_exp_f32_e32 v5, v5                                       // 00000000464C: 7E0A4105
	buffer_load_dwordx4 a[20:23], v61, s[12:15], 0 offen offset:1024// 000000004650: E05C1400 8083143D
	v_add_f32_e64 v2, v2, 1.0                                  // 000000004658: D1010002 0001E502
	v_add_f32_e64 v3, v3, 1.0                                  // 000000004660: D1010003 0001E503
	v_add_f32_e64 v4, v4, 1.0                                  // 000000004668: D1010004 0001E504
	v_add_f32_e64 v5, v5, 1.0                                  // 000000004670: D1010005 0001E505
	v_rcp_f32_e32 v2, v2                                       // 000000004678: 7E044502
	v_rcp_f32_e32 v3, v3                                       // 00000000467C: 7E064503
	v_rcp_f32_e32 v4, v4                                       // 000000004680: 7E084504
	v_rcp_f32_e32 v5, v5                                       // 000000004684: 7E0A4505
	v_mul_f32_e32 v72, v72, v2                                 // 000000004688: 0A900548
	v_mul_f32_e32 v73, v73, v3                                 // 00000000468C: 0A920749
	v_mul_f32_e32 v74, v74, v4                                 // 000000004690: 0A94094A
	v_mul_f32_e32 v75, v75, v5                                 // 000000004694: 0A960B4B
	v_mul_f32_e32 v72, v72, v136                               // 000000004698: 0A911148
	v_mul_f32_e32 v73, v73, v137                               // 00000000469C: 0A931349
	v_mul_f32_e32 v74, v74, v138                               // 0000000046A0: 0A95154A
	v_mul_f32_e32 v75, v75, v139                               // 0000000046A4: 0A97174B
	s_waitcnt vmcnt(14)                                        // 0000000046A8: BF8C0F7E
	buffer_load_dwordx4 a[24:27], v62, s[12:15], 0 offen offset:1024// 0000000046AC: E05C1400 8083183E
	v_mul_f32_e64 v2, -v76, s6                                 // 0000000046B4: D1050002 20000D4C
	v_mul_f32_e64 v3, -v77, s6                                 // 0000000046BC: D1050003 20000D4D
	v_mul_f32_e64 v4, -v78, s6                                 // 0000000046C4: D1050004 20000D4E
	v_mul_f32_e64 v5, -v79, s6                                 // 0000000046CC: D1050005 20000D4F
	v_exp_f32_e32 v2, v2                                       // 0000000046D4: 7E044102
	v_exp_f32_e32 v3, v3                                       // 0000000046D8: 7E064103
	v_exp_f32_e32 v4, v4                                       // 0000000046DC: 7E084104
	v_exp_f32_e32 v5, v5                                       // 0000000046E0: 7E0A4105
	buffer_load_dwordx4 a[28:31], v63, s[12:15], 0 offen offset:1024// 0000000046E4: E05C1400 80831C3F
	v_add_f32_e64 v2, v2, 1.0                                  // 0000000046EC: D1010002 0001E502
	v_add_f32_e64 v3, v3, 1.0                                  // 0000000046F4: D1010003 0001E503
	v_add_f32_e64 v4, v4, 1.0                                  // 0000000046FC: D1010004 0001E504
	v_add_f32_e64 v5, v5, 1.0                                  // 000000004704: D1010005 0001E505
	v_rcp_f32_e32 v2, v2                                       // 00000000470C: 7E044502
	v_rcp_f32_e32 v3, v3                                       // 000000004710: 7E064503
	v_rcp_f32_e32 v4, v4                                       // 000000004714: 7E084504
	v_rcp_f32_e32 v5, v5                                       // 000000004718: 7E0A4505
	v_mul_f32_e32 v76, v76, v2                                 // 00000000471C: 0A98054C
	v_mul_f32_e32 v77, v77, v3                                 // 000000004720: 0A9A074D
	v_mul_f32_e32 v78, v78, v4                                 // 000000004724: 0A9C094E
	v_mul_f32_e32 v79, v79, v5                                 // 000000004728: 0A9E0B4F
	v_mul_f32_e32 v76, v76, v140                               // 00000000472C: 0A99194C
	v_mul_f32_e32 v77, v77, v141                               // 000000004730: 0A9B1B4D
	v_mul_f32_e32 v78, v78, v142                               // 000000004734: 0A9D1D4E
	v_mul_f32_e32 v79, v79, v143                               // 000000004738: 0A9F1F4F
	s_waitcnt vmcnt(14)                                        // 00000000473C: BF8C0F7E
	buffer_load_dwordx4 a[32:35], v60, s[12:15], 0 offen offset:2048// 000000004740: E05C1800 8083203C
	v_mul_f32_e64 v2, -v80, s6                                 // 000000004748: D1050002 20000D50
	v_mul_f32_e64 v3, -v81, s6                                 // 000000004750: D1050003 20000D51
	v_mul_f32_e64 v4, -v82, s6                                 // 000000004758: D1050004 20000D52
	v_mul_f32_e64 v5, -v83, s6                                 // 000000004760: D1050005 20000D53
	v_exp_f32_e32 v2, v2                                       // 000000004768: 7E044102
	v_exp_f32_e32 v3, v3                                       // 00000000476C: 7E064103
	v_exp_f32_e32 v4, v4                                       // 000000004770: 7E084104
	v_exp_f32_e32 v5, v5                                       // 000000004774: 7E0A4105
	buffer_load_dwordx4 a[36:39], v61, s[12:15], 0 offen offset:2048// 000000004778: E05C1800 8083243D
	v_add_f32_e64 v2, v2, 1.0                                  // 000000004780: D1010002 0001E502
	v_add_f32_e64 v3, v3, 1.0                                  // 000000004788: D1010003 0001E503
	v_add_f32_e64 v4, v4, 1.0                                  // 000000004790: D1010004 0001E504
	v_add_f32_e64 v5, v5, 1.0                                  // 000000004798: D1010005 0001E505
	v_rcp_f32_e32 v2, v2                                       // 0000000047A0: 7E044502
	v_rcp_f32_e32 v3, v3                                       // 0000000047A4: 7E064503
	v_rcp_f32_e32 v4, v4                                       // 0000000047A8: 7E084504
	v_rcp_f32_e32 v5, v5                                       // 0000000047AC: 7E0A4505
	v_mul_f32_e32 v80, v80, v2                                 // 0000000047B0: 0AA00550
	v_mul_f32_e32 v81, v81, v3                                 // 0000000047B4: 0AA20751
	v_mul_f32_e32 v82, v82, v4                                 // 0000000047B8: 0AA40952
	v_mul_f32_e32 v83, v83, v5                                 // 0000000047BC: 0AA60B53
	v_mul_f32_e32 v80, v80, v144                               // 0000000047C0: 0AA12150
	v_mul_f32_e32 v81, v81, v145                               // 0000000047C4: 0AA32351
	v_mul_f32_e32 v82, v82, v146                               // 0000000047C8: 0AA52552
	v_mul_f32_e32 v83, v83, v147                               // 0000000047CC: 0AA72753
	s_waitcnt vmcnt(14)                                        // 0000000047D0: BF8C0F7E
	buffer_load_dwordx4 a[40:43], v62, s[12:15], 0 offen offset:2048// 0000000047D4: E05C1800 8083283E
	v_mul_f32_e64 v2, -v84, s6                                 // 0000000047DC: D1050002 20000D54
	v_mul_f32_e64 v3, -v85, s6                                 // 0000000047E4: D1050003 20000D55
	v_mul_f32_e64 v4, -v86, s6                                 // 0000000047EC: D1050004 20000D56
	v_mul_f32_e64 v5, -v87, s6                                 // 0000000047F4: D1050005 20000D57
	v_exp_f32_e32 v2, v2                                       // 0000000047FC: 7E044102
	v_exp_f32_e32 v3, v3                                       // 000000004800: 7E064103
	v_exp_f32_e32 v4, v4                                       // 000000004804: 7E084104
	v_exp_f32_e32 v5, v5                                       // 000000004808: 7E0A4105
	buffer_load_dwordx4 a[44:47], v63, s[12:15], 0 offen offset:2048// 00000000480C: E05C1800 80832C3F
	v_add_f32_e64 v2, v2, 1.0                                  // 000000004814: D1010002 0001E502
	v_add_f32_e64 v3, v3, 1.0                                  // 00000000481C: D1010003 0001E503
	v_add_f32_e64 v4, v4, 1.0                                  // 000000004824: D1010004 0001E504
	v_add_f32_e64 v5, v5, 1.0                                  // 00000000482C: D1010005 0001E505
	v_rcp_f32_e32 v2, v2                                       // 000000004834: 7E044502
	v_rcp_f32_e32 v3, v3                                       // 000000004838: 7E064503
	v_rcp_f32_e32 v4, v4                                       // 00000000483C: 7E084504
	v_rcp_f32_e32 v5, v5                                       // 000000004840: 7E0A4505
	v_mul_f32_e32 v84, v84, v2                                 // 000000004844: 0AA80554
	v_mul_f32_e32 v85, v85, v3                                 // 000000004848: 0AAA0755
	v_mul_f32_e32 v86, v86, v4                                 // 00000000484C: 0AAC0956
	v_mul_f32_e32 v87, v87, v5                                 // 000000004850: 0AAE0B57
	v_mul_f32_e32 v84, v84, v148                               // 000000004854: 0AA92954
	v_mul_f32_e32 v85, v85, v149                               // 000000004858: 0AAB2B55
	v_mul_f32_e32 v86, v86, v150                               // 00000000485C: 0AAD2D56
	v_mul_f32_e32 v87, v87, v151                               // 000000004860: 0AAF2F57
	s_waitcnt vmcnt(14)                                        // 000000004864: BF8C0F7E
	buffer_load_dwordx4 a[48:51], v60, s[12:15], 0 offen offset:3072// 000000004868: E05C1C00 8083303C
	v_mul_f32_e64 v2, -v88, s6                                 // 000000004870: D1050002 20000D58
	v_mul_f32_e64 v3, -v89, s6                                 // 000000004878: D1050003 20000D59
	v_mul_f32_e64 v4, -v90, s6                                 // 000000004880: D1050004 20000D5A
	v_mul_f32_e64 v5, -v91, s6                                 // 000000004888: D1050005 20000D5B
	v_exp_f32_e32 v2, v2                                       // 000000004890: 7E044102
	v_exp_f32_e32 v3, v3                                       // 000000004894: 7E064103
	v_exp_f32_e32 v4, v4                                       // 000000004898: 7E084104
	v_exp_f32_e32 v5, v5                                       // 00000000489C: 7E0A4105
	buffer_load_dwordx4 a[52:55], v61, s[12:15], 0 offen offset:3072// 0000000048A0: E05C1C00 8083343D
	v_add_f32_e64 v2, v2, 1.0                                  // 0000000048A8: D1010002 0001E502
	v_add_f32_e64 v3, v3, 1.0                                  // 0000000048B0: D1010003 0001E503
	v_add_f32_e64 v4, v4, 1.0                                  // 0000000048B8: D1010004 0001E504
	v_add_f32_e64 v5, v5, 1.0                                  // 0000000048C0: D1010005 0001E505
	v_rcp_f32_e32 v2, v2                                       // 0000000048C8: 7E044502
	v_rcp_f32_e32 v3, v3                                       // 0000000048CC: 7E064503
	v_rcp_f32_e32 v4, v4                                       // 0000000048D0: 7E084504
	v_rcp_f32_e32 v5, v5                                       // 0000000048D4: 7E0A4505
	v_mul_f32_e32 v88, v88, v2                                 // 0000000048D8: 0AB00558
	v_mul_f32_e32 v89, v89, v3                                 // 0000000048DC: 0AB20759
	v_mul_f32_e32 v90, v90, v4                                 // 0000000048E0: 0AB4095A
	v_mul_f32_e32 v91, v91, v5                                 // 0000000048E4: 0AB60B5B
	v_mul_f32_e32 v88, v88, v152                               // 0000000048E8: 0AB13158
	v_mul_f32_e32 v89, v89, v153                               // 0000000048EC: 0AB33359
	v_mul_f32_e32 v90, v90, v154                               // 0000000048F0: 0AB5355A
	v_mul_f32_e32 v91, v91, v155                               // 0000000048F4: 0AB7375B
	s_waitcnt vmcnt(14)                                        // 0000000048F8: BF8C0F7E
	buffer_load_dwordx4 a[56:59], v62, s[12:15], 0 offen offset:3072// 0000000048FC: E05C1C00 8083383E
	v_mul_f32_e64 v2, -v92, s6                                 // 000000004904: D1050002 20000D5C
	v_mul_f32_e64 v3, -v93, s6                                 // 00000000490C: D1050003 20000D5D
	v_mul_f32_e64 v4, -v94, s6                                 // 000000004914: D1050004 20000D5E
	v_mul_f32_e64 v5, -v95, s6                                 // 00000000491C: D1050005 20000D5F
	v_exp_f32_e32 v2, v2                                       // 000000004924: 7E044102
	v_exp_f32_e32 v3, v3                                       // 000000004928: 7E064103
	v_exp_f32_e32 v4, v4                                       // 00000000492C: 7E084104
	v_exp_f32_e32 v5, v5                                       // 000000004930: 7E0A4105
	buffer_load_dwordx4 a[60:63], v63, s[12:15], 0 offen offset:3072// 000000004934: E05C1C00 80833C3F
	v_add_f32_e64 v2, v2, 1.0                                  // 00000000493C: D1010002 0001E502
	v_add_f32_e64 v3, v3, 1.0                                  // 000000004944: D1010003 0001E503
	v_add_f32_e64 v4, v4, 1.0                                  // 00000000494C: D1010004 0001E504
	v_add_f32_e64 v5, v5, 1.0                                  // 000000004954: D1010005 0001E505
	v_rcp_f32_e32 v2, v2                                       // 00000000495C: 7E044502
	v_rcp_f32_e32 v3, v3                                       // 000000004960: 7E064503
	v_rcp_f32_e32 v4, v4                                       // 000000004964: 7E084504
	v_rcp_f32_e32 v5, v5                                       // 000000004968: 7E0A4505
	v_mul_f32_e32 v92, v92, v2                                 // 00000000496C: 0AB8055C
	v_mul_f32_e32 v93, v93, v3                                 // 000000004970: 0ABA075D
	v_mul_f32_e32 v94, v94, v4                                 // 000000004974: 0ABC095E
	v_mul_f32_e32 v95, v95, v5                                 // 000000004978: 0ABE0B5F
	v_mul_f32_e32 v92, v92, v156                               // 00000000497C: 0AB9395C
	v_mul_f32_e32 v93, v93, v157                               // 000000004980: 0ABB3B5D
	v_mul_f32_e32 v94, v94, v158                               // 000000004984: 0ABD3D5E
	v_mul_f32_e32 v95, v95, v159                               // 000000004988: 0ABF3F5F
	s_waitcnt vmcnt(14)                                        // 00000000498C: BF8C0F7E
	v_mul_f32_e64 v2, -v96, s6                                 // 000000004990: D1050002 20000D60
	v_mul_f32_e64 v3, -v97, s6                                 // 000000004998: D1050003 20000D61
	v_mul_f32_e64 v4, -v98, s6                                 // 0000000049A0: D1050004 20000D62
	v_mul_f32_e64 v5, -v99, s6                                 // 0000000049A8: D1050005 20000D63
	v_exp_f32_e32 v2, v2                                       // 0000000049B0: 7E044102
	v_exp_f32_e32 v3, v3                                       // 0000000049B4: 7E064103
	v_exp_f32_e32 v4, v4                                       // 0000000049B8: 7E084104
	v_exp_f32_e32 v5, v5                                       // 0000000049BC: 7E0A4105
	v_add_f32_e64 v2, v2, 1.0                                  // 0000000049C0: D1010002 0001E502
	v_add_f32_e64 v3, v3, 1.0                                  // 0000000049C8: D1010003 0001E503
	v_add_f32_e64 v4, v4, 1.0                                  // 0000000049D0: D1010004 0001E504
	v_add_f32_e64 v5, v5, 1.0                                  // 0000000049D8: D1010005 0001E505
	v_rcp_f32_e32 v2, v2                                       // 0000000049E0: 7E044502
	v_rcp_f32_e32 v3, v3                                       // 0000000049E4: 7E064503
	v_rcp_f32_e32 v4, v4                                       // 0000000049E8: 7E084504
	v_rcp_f32_e32 v5, v5                                       // 0000000049EC: 7E0A4505
	v_mul_f32_e32 v96, v96, v2                                 // 0000000049F0: 0AC00560
	v_mul_f32_e32 v97, v97, v3                                 // 0000000049F4: 0AC20761
	v_mul_f32_e32 v98, v98, v4                                 // 0000000049F8: 0AC40962
	v_mul_f32_e32 v99, v99, v5                                 // 0000000049FC: 0AC60B63
	v_mul_f32_e32 v96, v96, v160                               // 000000004A00: 0AC14160
	v_mul_f32_e32 v97, v97, v161                               // 000000004A04: 0AC34361
	v_mul_f32_e32 v98, v98, v162                               // 000000004A08: 0AC54562
	v_mul_f32_e32 v99, v99, v163                               // 000000004A0C: 0AC74763
	s_waitcnt vmcnt(14)                                        // 000000004A10: BF8C0F7E
	v_mul_f32_e64 v2, -v100, s6                                // 000000004A14: D1050002 20000D64
	v_mul_f32_e64 v3, -v101, s6                                // 000000004A1C: D1050003 20000D65
	v_mul_f32_e64 v4, -v102, s6                                // 000000004A24: D1050004 20000D66
	v_mul_f32_e64 v5, -v103, s6                                // 000000004A2C: D1050005 20000D67
	v_exp_f32_e32 v2, v2                                       // 000000004A34: 7E044102
	v_exp_f32_e32 v3, v3                                       // 000000004A38: 7E064103
	v_exp_f32_e32 v4, v4                                       // 000000004A3C: 7E084104
	v_exp_f32_e32 v5, v5                                       // 000000004A40: 7E0A4105
	v_add_f32_e64 v2, v2, 1.0                                  // 000000004A44: D1010002 0001E502
	v_add_f32_e64 v3, v3, 1.0                                  // 000000004A4C: D1010003 0001E503
	v_add_f32_e64 v4, v4, 1.0                                  // 000000004A54: D1010004 0001E504
	v_add_f32_e64 v5, v5, 1.0                                  // 000000004A5C: D1010005 0001E505
	v_rcp_f32_e32 v2, v2                                       // 000000004A64: 7E044502
	v_rcp_f32_e32 v3, v3                                       // 000000004A68: 7E064503
	v_rcp_f32_e32 v4, v4                                       // 000000004A6C: 7E084504
	v_rcp_f32_e32 v5, v5                                       // 000000004A70: 7E0A4505
	v_mul_f32_e32 v100, v100, v2                               // 000000004A74: 0AC80564
	v_mul_f32_e32 v101, v101, v3                               // 000000004A78: 0ACA0765
	v_mul_f32_e32 v102, v102, v4                               // 000000004A7C: 0ACC0966
	v_mul_f32_e32 v103, v103, v5                               // 000000004A80: 0ACE0B67
	v_mul_f32_e32 v100, v100, v164                             // 000000004A84: 0AC94964
	v_mul_f32_e32 v101, v101, v165                             // 000000004A88: 0ACB4B65
	v_mul_f32_e32 v102, v102, v166                             // 000000004A8C: 0ACD4D66
	v_mul_f32_e32 v103, v103, v167                             // 000000004A90: 0ACF4F67
	s_waitcnt vmcnt(14)                                        // 000000004A94: BF8C0F7E
	v_mul_f32_e64 v2, -v104, s6                                // 000000004A98: D1050002 20000D68
	v_mul_f32_e64 v3, -v105, s6                                // 000000004AA0: D1050003 20000D69
	v_mul_f32_e64 v4, -v106, s6                                // 000000004AA8: D1050004 20000D6A
	v_mul_f32_e64 v5, -v107, s6                                // 000000004AB0: D1050005 20000D6B
	v_exp_f32_e32 v2, v2                                       // 000000004AB8: 7E044102
	v_exp_f32_e32 v3, v3                                       // 000000004ABC: 7E064103
	v_exp_f32_e32 v4, v4                                       // 000000004AC0: 7E084104
	v_exp_f32_e32 v5, v5                                       // 000000004AC4: 7E0A4105
	v_add_f32_e64 v2, v2, 1.0                                  // 000000004AC8: D1010002 0001E502
	v_add_f32_e64 v3, v3, 1.0                                  // 000000004AD0: D1010003 0001E503
	v_add_f32_e64 v4, v4, 1.0                                  // 000000004AD8: D1010004 0001E504
	v_add_f32_e64 v5, v5, 1.0                                  // 000000004AE0: D1010005 0001E505
	v_rcp_f32_e32 v2, v2                                       // 000000004AE8: 7E044502
	v_rcp_f32_e32 v3, v3                                       // 000000004AEC: 7E064503
	v_rcp_f32_e32 v4, v4                                       // 000000004AF0: 7E084504
	v_rcp_f32_e32 v5, v5                                       // 000000004AF4: 7E0A4505
	v_mul_f32_e32 v104, v104, v2                               // 000000004AF8: 0AD00568
	v_mul_f32_e32 v105, v105, v3                               // 000000004AFC: 0AD20769
	v_mul_f32_e32 v106, v106, v4                               // 000000004B00: 0AD4096A
	v_mul_f32_e32 v107, v107, v5                               // 000000004B04: 0AD60B6B
	v_mul_f32_e32 v104, v104, v168                             // 000000004B08: 0AD15168
	v_mul_f32_e32 v105, v105, v169                             // 000000004B0C: 0AD35369
	v_mul_f32_e32 v106, v106, v170                             // 000000004B10: 0AD5556A
	v_mul_f32_e32 v107, v107, v171                             // 000000004B14: 0AD7576B
	s_waitcnt vmcnt(14)                                        // 000000004B18: BF8C0F7E
	v_mul_f32_e64 v2, -v108, s6                                // 000000004B1C: D1050002 20000D6C
	v_mul_f32_e64 v3, -v109, s6                                // 000000004B24: D1050003 20000D6D
	v_mul_f32_e64 v4, -v110, s6                                // 000000004B2C: D1050004 20000D6E
	v_mul_f32_e64 v5, -v111, s6                                // 000000004B34: D1050005 20000D6F
	v_exp_f32_e32 v2, v2                                       // 000000004B3C: 7E044102
	v_exp_f32_e32 v3, v3                                       // 000000004B40: 7E064103
	v_exp_f32_e32 v4, v4                                       // 000000004B44: 7E084104
	v_exp_f32_e32 v5, v5                                       // 000000004B48: 7E0A4105
	v_add_f32_e64 v2, v2, 1.0                                  // 000000004B4C: D1010002 0001E502
	v_add_f32_e64 v3, v3, 1.0                                  // 000000004B54: D1010003 0001E503
	v_add_f32_e64 v4, v4, 1.0                                  // 000000004B5C: D1010004 0001E504
	v_add_f32_e64 v5, v5, 1.0                                  // 000000004B64: D1010005 0001E505
	v_rcp_f32_e32 v2, v2                                       // 000000004B6C: 7E044502
	v_rcp_f32_e32 v3, v3                                       // 000000004B70: 7E064503
	v_rcp_f32_e32 v4, v4                                       // 000000004B74: 7E084504
	v_rcp_f32_e32 v5, v5                                       // 000000004B78: 7E0A4505
	v_mul_f32_e32 v108, v108, v2                               // 000000004B7C: 0AD8056C
	v_mul_f32_e32 v109, v109, v3                               // 000000004B80: 0ADA076D
	v_mul_f32_e32 v110, v110, v4                               // 000000004B84: 0ADC096E
	v_mul_f32_e32 v111, v111, v5                               // 000000004B88: 0ADE0B6F
	v_mul_f32_e32 v108, v108, v172                             // 000000004B8C: 0AD9596C
	v_mul_f32_e32 v109, v109, v173                             // 000000004B90: 0ADB5B6D
	v_mul_f32_e32 v110, v110, v174                             // 000000004B94: 0ADD5D6E
	v_mul_f32_e32 v111, v111, v175                             // 000000004B98: 0ADF5F6F
	s_waitcnt vmcnt(14)                                        // 000000004B9C: BF8C0F7E
	v_mul_f32_e64 v2, -v112, s6                                // 000000004BA0: D1050002 20000D70
	v_mul_f32_e64 v3, -v113, s6                                // 000000004BA8: D1050003 20000D71
	v_mul_f32_e64 v4, -v114, s6                                // 000000004BB0: D1050004 20000D72
	v_mul_f32_e64 v5, -v115, s6                                // 000000004BB8: D1050005 20000D73
	v_exp_f32_e32 v2, v2                                       // 000000004BC0: 7E044102
	v_exp_f32_e32 v3, v3                                       // 000000004BC4: 7E064103
	v_exp_f32_e32 v4, v4                                       // 000000004BC8: 7E084104
	v_exp_f32_e32 v5, v5                                       // 000000004BCC: 7E0A4105
	v_add_f32_e64 v2, v2, 1.0                                  // 000000004BD0: D1010002 0001E502
	v_add_f32_e64 v3, v3, 1.0                                  // 000000004BD8: D1010003 0001E503
	v_add_f32_e64 v4, v4, 1.0                                  // 000000004BE0: D1010004 0001E504
	v_add_f32_e64 v5, v5, 1.0                                  // 000000004BE8: D1010005 0001E505
	v_rcp_f32_e32 v2, v2                                       // 000000004BF0: 7E044502
	v_rcp_f32_e32 v3, v3                                       // 000000004BF4: 7E064503
	v_rcp_f32_e32 v4, v4                                       // 000000004BF8: 7E084504
	v_rcp_f32_e32 v5, v5                                       // 000000004BFC: 7E0A4505
	v_mul_f32_e32 v112, v112, v2                               // 000000004C00: 0AE00570
	v_mul_f32_e32 v113, v113, v3                               // 000000004C04: 0AE20771
	v_mul_f32_e32 v114, v114, v4                               // 000000004C08: 0AE40972
	v_mul_f32_e32 v115, v115, v5                               // 000000004C0C: 0AE60B73
	v_mul_f32_e32 v112, v112, v176                             // 000000004C10: 0AE16170
	v_mul_f32_e32 v113, v113, v177                             // 000000004C14: 0AE36371
	v_mul_f32_e32 v114, v114, v178                             // 000000004C18: 0AE56572
	v_mul_f32_e32 v115, v115, v179                             // 000000004C1C: 0AE76773
	s_waitcnt vmcnt(14)                                        // 000000004C20: BF8C0F7E
	v_mul_f32_e64 v2, -v116, s6                                // 000000004C24: D1050002 20000D74
	v_mul_f32_e64 v3, -v117, s6                                // 000000004C2C: D1050003 20000D75
	v_mul_f32_e64 v4, -v118, s6                                // 000000004C34: D1050004 20000D76
	v_mul_f32_e64 v5, -v119, s6                                // 000000004C3C: D1050005 20000D77
	v_exp_f32_e32 v2, v2                                       // 000000004C44: 7E044102
	v_exp_f32_e32 v3, v3                                       // 000000004C48: 7E064103
	v_exp_f32_e32 v4, v4                                       // 000000004C4C: 7E084104
	v_exp_f32_e32 v5, v5                                       // 000000004C50: 7E0A4105
	v_add_f32_e64 v2, v2, 1.0                                  // 000000004C54: D1010002 0001E502
	v_add_f32_e64 v3, v3, 1.0                                  // 000000004C5C: D1010003 0001E503
	v_add_f32_e64 v4, v4, 1.0                                  // 000000004C64: D1010004 0001E504
	v_add_f32_e64 v5, v5, 1.0                                  // 000000004C6C: D1010005 0001E505
	v_rcp_f32_e32 v2, v2                                       // 000000004C74: 7E044502
	v_rcp_f32_e32 v3, v3                                       // 000000004C78: 7E064503
	v_rcp_f32_e32 v4, v4                                       // 000000004C7C: 7E084504
	v_rcp_f32_e32 v5, v5                                       // 000000004C80: 7E0A4505
	v_mul_f32_e32 v116, v116, v2                               // 000000004C84: 0AE80574
	v_mul_f32_e32 v117, v117, v3                               // 000000004C88: 0AEA0775
	v_mul_f32_e32 v118, v118, v4                               // 000000004C8C: 0AEC0976
	v_mul_f32_e32 v119, v119, v5                               // 000000004C90: 0AEE0B77
	v_mul_f32_e32 v116, v116, v180                             // 000000004C94: 0AE96974
	v_mul_f32_e32 v117, v117, v181                             // 000000004C98: 0AEB6B75
	v_mul_f32_e32 v118, v118, v182                             // 000000004C9C: 0AED6D76
	v_mul_f32_e32 v119, v119, v183                             // 000000004CA0: 0AEF6F77
	s_waitcnt vmcnt(14)                                        // 000000004CA4: BF8C0F7E
	v_mul_f32_e64 v2, -v120, s6                                // 000000004CA8: D1050002 20000D78
	v_mul_f32_e64 v3, -v121, s6                                // 000000004CB0: D1050003 20000D79
	v_mul_f32_e64 v4, -v122, s6                                // 000000004CB8: D1050004 20000D7A
	v_mul_f32_e64 v5, -v123, s6                                // 000000004CC0: D1050005 20000D7B
	v_exp_f32_e32 v2, v2                                       // 000000004CC8: 7E044102
	v_exp_f32_e32 v3, v3                                       // 000000004CCC: 7E064103
	v_exp_f32_e32 v4, v4                                       // 000000004CD0: 7E084104
	v_exp_f32_e32 v5, v5                                       // 000000004CD4: 7E0A4105
	v_add_f32_e64 v2, v2, 1.0                                  // 000000004CD8: D1010002 0001E502
	v_add_f32_e64 v3, v3, 1.0                                  // 000000004CE0: D1010003 0001E503
	v_add_f32_e64 v4, v4, 1.0                                  // 000000004CE8: D1010004 0001E504
	v_add_f32_e64 v5, v5, 1.0                                  // 000000004CF0: D1010005 0001E505
	v_rcp_f32_e32 v2, v2                                       // 000000004CF8: 7E044502
	v_rcp_f32_e32 v3, v3                                       // 000000004CFC: 7E064503
	v_rcp_f32_e32 v4, v4                                       // 000000004D00: 7E084504
	v_rcp_f32_e32 v5, v5                                       // 000000004D04: 7E0A4505
	v_mul_f32_e32 v120, v120, v2                               // 000000004D08: 0AF00578
	v_mul_f32_e32 v121, v121, v3                               // 000000004D0C: 0AF20779
	v_mul_f32_e32 v122, v122, v4                               // 000000004D10: 0AF4097A
	v_mul_f32_e32 v123, v123, v5                               // 000000004D14: 0AF60B7B
	v_mul_f32_e32 v120, v120, v184                             // 000000004D18: 0AF17178
	v_mul_f32_e32 v121, v121, v185                             // 000000004D1C: 0AF37379
	v_mul_f32_e32 v122, v122, v186                             // 000000004D20: 0AF5757A
	v_mul_f32_e32 v123, v123, v187                             // 000000004D24: 0AF7777B
	s_waitcnt vmcnt(14)                                        // 000000004D28: BF8C0F7E
	v_mul_f32_e64 v2, -v124, s6                                // 000000004D2C: D1050002 20000D7C
	v_mul_f32_e64 v3, -v125, s6                                // 000000004D34: D1050003 20000D7D
	v_mul_f32_e64 v4, -v126, s6                                // 000000004D3C: D1050004 20000D7E
	v_mul_f32_e64 v5, -v127, s6                                // 000000004D44: D1050005 20000D7F
	v_exp_f32_e32 v2, v2                                       // 000000004D4C: 7E044102
	v_exp_f32_e32 v3, v3                                       // 000000004D50: 7E064103
	v_exp_f32_e32 v4, v4                                       // 000000004D54: 7E084104
	v_exp_f32_e32 v5, v5                                       // 000000004D58: 7E0A4105
	v_add_f32_e64 v2, v2, 1.0                                  // 000000004D5C: D1010002 0001E502
	v_add_f32_e64 v3, v3, 1.0                                  // 000000004D64: D1010003 0001E503
	v_add_f32_e64 v4, v4, 1.0                                  // 000000004D6C: D1010004 0001E504
	v_add_f32_e64 v5, v5, 1.0                                  // 000000004D74: D1010005 0001E505
	v_rcp_f32_e32 v2, v2                                       // 000000004D7C: 7E044502
	v_rcp_f32_e32 v3, v3                                       // 000000004D80: 7E064503
	v_rcp_f32_e32 v4, v4                                       // 000000004D84: 7E084504
	v_rcp_f32_e32 v5, v5                                       // 000000004D88: 7E0A4505
	v_mul_f32_e32 v124, v124, v2                               // 000000004D8C: 0AF8057C
	v_mul_f32_e32 v125, v125, v3                               // 000000004D90: 0AFA077D
	v_mul_f32_e32 v126, v126, v4                               // 000000004D94: 0AFC097E
	v_mul_f32_e32 v127, v127, v5                               // 000000004D98: 0AFE0B7F
	v_mul_f32_e32 v124, v124, v188                             // 000000004D9C: 0AF9797C
	v_mul_f32_e32 v125, v125, v189                             // 000000004DA0: 0AFB7B7D
	v_mul_f32_e32 v126, v126, v190                             // 000000004DA4: 0AFD7D7E
	v_mul_f32_e32 v127, v127, v191                             // 000000004DA8: 0AFF7F7F
	v_lshlrev_b32_e32 v2, 2, v0                                // 000000004DAC: 24040082
	s_mul_i32 s60, s82, s71                                    // 000000004DB0: 923C4752
	v_add_u32_e64 v144, v2, s60                                // 000000004DB4: D1340090 00007902
	v_mov_b32_e32 v145, 0                                      // 000000004DBC: 7F220280
	s_mul_i32 s60, s83, s71                                    // 000000004DC0: 923C4753
	v_add_u32_e64 v146, v2, s60                                // 000000004DC4: D1340092 00007902
	v_mov_b32_e32 v147, 0                                      // 000000004DCC: 7F260280
	s_mul_i32 s60, s84, s71                                    // 000000004DD0: 923C4754
	v_add_u32_e64 v148, v2, s60                                // 000000004DD4: D1340094 00007902
	v_mov_b32_e32 v149, 0                                      // 000000004DDC: 7F2A0280
	s_mul_i32 s60, s85, s71                                    // 000000004DE0: 923C4755
	v_add_u32_e64 v150, v2, s60                                // 000000004DE4: D1340096 00007902
	v_mov_b32_e32 v151, 0                                      // 000000004DEC: 7F2E0280
	s_mul_i32 s60, s86, s71                                    // 000000004DF0: 923C4756
	v_add_u32_e64 v152, v2, s60                                // 000000004DF4: D1340098 00007902
	v_mov_b32_e32 v153, 0                                      // 000000004DFC: 7F320280
	s_mul_i32 s60, s87, s71                                    // 000000004E00: 923C4757
	v_add_u32_e64 v154, v2, s60                                // 000000004E04: D134009A 00007902
	v_mov_b32_e32 v155, 0                                      // 000000004E0C: 7F360280
	s_mul_i32 s60, s88, s71                                    // 000000004E10: 923C4758
	v_add_u32_e64 v156, v2, s60                                // 000000004E14: D134009C 00007902
	v_mov_b32_e32 v157, 0                                      // 000000004E1C: 7F3A0280
	s_mul_i32 s60, s89, s71                                    // 000000004E20: 923C4759
	v_add_u32_e64 v158, v2, s60                                // 000000004E24: D134009E 00007902
	v_mov_b32_e32 v159, 0                                      // 000000004E2C: 7F3E0280
	buffer_load_dword v25, v10, s[16:19], 0 offen              // 000000004E30: E0501000 8004190A
	buffer_load_dword v26, v11, s[16:19], 0 offen              // 000000004E38: E0501000 80041A0B
	buffer_load_dword v27, v10, s[16:19], 0 offen offset:256   // 000000004E40: E0501100 80041B0A
	buffer_load_dword v28, v11, s[16:19], 0 offen offset:256   // 000000004E48: E0501100 80041C0B
	v_mov_b32_e32 v43, 0x358637bd                              // 000000004E50: 7E5602FF 358637BD
	v_mov_b32_e32 v44, 0x358637bd                              // 000000004E58: 7E5802FF 358637BD
	v_max3_f32 v43, |v64|, |v65|, v43                          // 000000004E60: D1D3032B 04AE8340
	v_max3_f32 v43, |v66|, |v67|, v43                          // 000000004E68: D1D3032B 04AE8742
	v_max3_f32 v43, |v68|, |v69|, v43                          // 000000004E70: D1D3032B 04AE8B44
	v_max3_f32 v43, |v70|, |v71|, v43                          // 000000004E78: D1D3032B 04AE8F46
	v_max3_f32 v44, |v96|, |v97|, v44                          // 000000004E80: D1D3032C 04B2C360
	v_max3_f32 v44, |v98|, |v99|, v44                          // 000000004E88: D1D3032C 04B2C762
	v_max3_f32 v44, |v100|, |v101|, v44                        // 000000004E90: D1D3032C 04B2CB64
	v_max3_f32 v44, |v102|, |v103|, v44                        // 000000004E98: D1D3032C 04B2CF66
	v_mov_b32_e32 v2, v43                                      // 000000004EA0: 7E04032B
	s_nop 1                                                    // 000000004EA4: BF800001
	v_permlane32_swap_b32_e32 v2, v43                          // 000000004EA8: 7E04B52B
	v_max_f32_e32 v43, v2, v43                                 // 000000004EAC: 16565702
	v_mov_b32_e32 v2, v43                                      // 000000004EB0: 7E04032B
	s_nop 1                                                    // 000000004EB4: BF800001
	v_permlane16_swap_b32_e32 v2, v43                          // 000000004EB8: 7E04B32B
	v_max_f32_e32 v43, v2, v43                                 // 000000004EBC: 16565702
	v_mov_b32_e32 v2, v44                                      // 000000004EC0: 7E04032C
	s_nop 1                                                    // 000000004EC4: BF800001
	v_permlane32_swap_b32_e32 v2, v44                          // 000000004EC8: 7E04B52C
	v_max_f32_e32 v44, v2, v44                                 // 000000004ECC: 16585902
	v_mov_b32_e32 v2, v44                                      // 000000004ED0: 7E04032C
	s_nop 1                                                    // 000000004ED4: BF800001
	v_permlane16_swap_b32_e32 v2, v44                          // 000000004ED8: 7E04B32C
	v_max_f32_e32 v44, v2, v44                                 // 000000004EDC: 16585902
	v_mov_b32_e32 v2, 0x3e800000                               // 000000004EE0: 7E0402FF 3E800000
	v_mul_f32_e32 v43, v2, v43                                 // 000000004EE8: 0A565702
	v_mul_f32_e32 v44, v2, v44                                 // 000000004EEC: 0A585902
	v_mov_b32_e32 v1, 0x7fff0000                               // 000000004EF0: 7E0202FF 7FFF0000
	v_mov_b32_e32 v5, 0x7fbfffff                               // 000000004EF8: 7E0A02FF 7FBFFFFF
	v_bfe_u32 v2, v43, 22, 1                                   // 000000004F00: D1C80002 02052D2B
	v_and_b32_e32 v3, v43, v5                                  // 000000004F08: 26060B2B
	v_cmp_eq_u32_e64 s[60:61], v3, 0                           // 000000004F0C: D0CA003C 00010103
	v_cndmask_b32_e64 v4, 1, 0, s[60:61]                       // 000000004F14: D1000004 00F10081
	v_and_b32_e32 v4, v4, v2                                   // 000000004F1C: 26080504
	v_bfe_u32 v5, v43, 23, 8                                   // 000000004F20: D1C80005 02212F2B
	v_add_u32_e32 v5, v5, v4                                   // 000000004F28: 680A0905
	v_cmp_u_f32_e64 s[60:61], v43, v43                         // 000000004F2C: D048003C 0002572B
	v_lshlrev_b32_e32 v43, 23, v5                              // 000000004F34: 24560A97
	v_cndmask_b32_e64 v43, v43, v1, s[60:61]                   // 000000004F38: D100002B 00F2032B
	v_mov_b32_e32 v5, 0x7fbfffff                               // 000000004F40: 7E0A02FF 7FBFFFFF
	v_bfe_u32 v2, v44, 22, 1                                   // 000000004F48: D1C80002 02052D2C
	v_and_b32_e32 v3, v44, v5                                  // 000000004F50: 26060B2C
	v_cmp_eq_u32_e64 s[60:61], v3, 0                           // 000000004F54: D0CA003C 00010103
	v_cndmask_b32_e64 v4, 1, 0, s[60:61]                       // 000000004F5C: D1000004 00F10081
	v_and_b32_e32 v4, v4, v2                                   // 000000004F64: 26080504
	v_bfe_u32 v5, v44, 23, 8                                   // 000000004F68: D1C80005 02212F2C
	v_add_u32_e32 v5, v5, v4                                   // 000000004F70: 680A0905
	v_cmp_u_f32_e64 s[60:61], v44, v44                         // 000000004F74: D048003C 0002592C
	v_lshlrev_b32_e32 v44, 23, v5                              // 000000004F7C: 24580A97
	v_cndmask_b32_e64 v44, v44, v1, s[60:61]                   // 000000004F80: D100002C 00F2032C
	s_mov_b32 s60, 0xffff                                      // 000000004F88: BEBC00FF 0000FFFF
	v_cvt_scalef32_pk_fp4_f32 v64, v64, v65, v43               // 000000004F90: D23D0040 04AE8340
	v_cvt_scalef32_pk_fp4_f32 v64, v66, v67, v43 op_sel:[0,0,1,0]// 000000004F98: D23D2040 04AE8742
	v_cvt_scalef32_pk_fp4_f32 v68, v68, v69, v43               // 000000004FA0: D23D0044 04AE8B44
	v_cvt_scalef32_pk_fp4_f32 v68, v70, v71, v43 op_sel:[0,0,1,0]// 000000004FA8: D23D2044 04AE8F46
	s_nop 1                                                    // 000000004FB0: BF800001
	v_permlane16_swap_b32_e32 v64, v68                         // 000000004FB4: 7E80B344
	s_nop 1                                                    // 000000004FB8: BF800001
	v_and_b32_e64 v64, v64, s60                                // 000000004FBC: D1130040 00007940
	v_lshlrev_b32_e32 v68, 16, v68                             // 000000004FC4: 24888890
	v_or_b32_e32 v64, v64, v68                                 // 000000004FC8: 28808940
	v_mov_b32_e32 v68, v64                                     // 000000004FCC: 7E880340
	s_nop 1                                                    // 000000004FD0: BF800001
	v_permlane32_swap_b32_e32 v64, v68                         // 000000004FD4: 7E80B544
	s_nop 1                                                    // 000000004FD8: BF800001
	v_permlane16_swap_b32_e32 v64, v68                         // 000000004FDC: 7E80B344
	s_nop 1                                                    // 000000004FE0: BF800001
	v_permlane32_swap_b32_e32 v64, v68                         // 000000004FE4: 7E80B544
	s_nop 1                                                    // 000000004FE8: BF800001
	v_cvt_scalef32_pk_fp4_f32 v96, v96, v97, v44               // 000000004FEC: D23D0060 04B2C360
	v_cvt_scalef32_pk_fp4_f32 v96, v98, v99, v44 op_sel:[0,0,1,0]// 000000004FF4: D23D2060 04B2C762
	v_cvt_scalef32_pk_fp4_f32 v100, v100, v101, v44            // 000000004FFC: D23D0064 04B2CB64
	v_cvt_scalef32_pk_fp4_f32 v100, v102, v103, v44 op_sel:[0,0,1,0]// 000000005004: D23D2064 04B2CF66
	s_nop 1                                                    // 00000000500C: BF800001
	v_permlane16_swap_b32_e32 v96, v100                        // 000000005010: 7EC0B364
	s_nop 1                                                    // 000000005014: BF800001
	v_and_b32_e64 v96, v96, s60                                // 000000005018: D1130060 00007960
	v_lshlrev_b32_e32 v100, 16, v100                           // 000000005020: 24C8C890
	v_or_b32_e32 v96, v96, v100                                // 000000005024: 28C0C960
	v_mov_b32_e32 v100, v96                                    // 000000005028: 7EC80360
	s_nop 1                                                    // 00000000502C: BF800001
	v_permlane32_swap_b32_e32 v96, v100                        // 000000005030: 7EC0B564
	s_nop 1                                                    // 000000005034: BF800001
	v_permlane16_swap_b32_e32 v96, v100                        // 000000005038: 7EC0B364
	s_nop 1                                                    // 00000000503C: BF800001
	v_permlane32_swap_b32_e32 v96, v100                        // 000000005040: 7EC0B564
	s_nop 1                                                    // 000000005044: BF800001
	v_mov_b32_e32 v45, 0x358637bd                              // 000000005048: 7E5A02FF 358637BD
	v_mov_b32_e32 v46, 0x358637bd                              // 000000005050: 7E5C02FF 358637BD
	v_max3_f32 v45, |v72|, |v73|, v45                          // 000000005058: D1D3032D 04B69348
	v_max3_f32 v45, |v74|, |v75|, v45                          // 000000005060: D1D3032D 04B6974A
	v_max3_f32 v45, |v76|, |v77|, v45                          // 000000005068: D1D3032D 04B69B4C
	v_max3_f32 v45, |v78|, |v79|, v45                          // 000000005070: D1D3032D 04B69F4E
	v_max3_f32 v46, |v104|, |v105|, v46                        // 000000005078: D1D3032E 04BAD368
	v_max3_f32 v46, |v106|, |v107|, v46                        // 000000005080: D1D3032E 04BAD76A
	v_max3_f32 v46, |v108|, |v109|, v46                        // 000000005088: D1D3032E 04BADB6C
	v_max3_f32 v46, |v110|, |v111|, v46                        // 000000005090: D1D3032E 04BADF6E
	v_mov_b32_e32 v2, v45                                      // 000000005098: 7E04032D
	s_nop 1                                                    // 00000000509C: BF800001
	v_permlane32_swap_b32_e32 v2, v45                          // 0000000050A0: 7E04B52D
	v_max_f32_e32 v45, v2, v45                                 // 0000000050A4: 165A5B02
	v_mov_b32_e32 v2, v45                                      // 0000000050A8: 7E04032D
	s_nop 1                                                    // 0000000050AC: BF800001
	v_permlane16_swap_b32_e32 v2, v45                          // 0000000050B0: 7E04B32D
	v_max_f32_e32 v45, v2, v45                                 // 0000000050B4: 165A5B02
	v_mov_b32_e32 v2, v46                                      // 0000000050B8: 7E04032E
	s_nop 1                                                    // 0000000050BC: BF800001
	v_permlane32_swap_b32_e32 v2, v46                          // 0000000050C0: 7E04B52E
	v_max_f32_e32 v46, v2, v46                                 // 0000000050C4: 165C5D02
	v_mov_b32_e32 v2, v46                                      // 0000000050C8: 7E04032E
	s_nop 1                                                    // 0000000050CC: BF800001
	v_permlane16_swap_b32_e32 v2, v46                          // 0000000050D0: 7E04B32E
	v_max_f32_e32 v46, v2, v46                                 // 0000000050D4: 165C5D02
	v_mov_b32_e32 v2, 0x3e800000                               // 0000000050D8: 7E0402FF 3E800000
	v_mul_f32_e32 v45, v2, v45                                 // 0000000050E0: 0A5A5B02
	v_mul_f32_e32 v46, v2, v46                                 // 0000000050E4: 0A5C5D02
	v_mov_b32_e32 v1, 0x7fff0000                               // 0000000050E8: 7E0202FF 7FFF0000
	v_mov_b32_e32 v5, 0x7fbfffff                               // 0000000050F0: 7E0A02FF 7FBFFFFF
	v_bfe_u32 v2, v45, 22, 1                                   // 0000000050F8: D1C80002 02052D2D
	v_and_b32_e32 v3, v45, v5                                  // 000000005100: 26060B2D
	v_cmp_eq_u32_e64 s[60:61], v3, 0                           // 000000005104: D0CA003C 00010103
	v_cndmask_b32_e64 v4, 1, 0, s[60:61]                       // 00000000510C: D1000004 00F10081
	v_and_b32_e32 v4, v4, v2                                   // 000000005114: 26080504
	v_bfe_u32 v5, v45, 23, 8                                   // 000000005118: D1C80005 02212F2D
	v_add_u32_e32 v5, v5, v4                                   // 000000005120: 680A0905
	v_cmp_u_f32_e64 s[60:61], v45, v45                         // 000000005124: D048003C 00025B2D
	v_lshlrev_b32_e32 v45, 23, v5                              // 00000000512C: 245A0A97
	v_cndmask_b32_e64 v45, v45, v1, s[60:61]                   // 000000005130: D100002D 00F2032D
	v_mov_b32_e32 v5, 0x7fbfffff                               // 000000005138: 7E0A02FF 7FBFFFFF
	v_bfe_u32 v2, v46, 22, 1                                   // 000000005140: D1C80002 02052D2E
	v_and_b32_e32 v3, v46, v5                                  // 000000005148: 26060B2E
	v_cmp_eq_u32_e64 s[60:61], v3, 0                           // 00000000514C: D0CA003C 00010103
	v_cndmask_b32_e64 v4, 1, 0, s[60:61]                       // 000000005154: D1000004 00F10081
	v_and_b32_e32 v4, v4, v2                                   // 00000000515C: 26080504
	v_bfe_u32 v5, v46, 23, 8                                   // 000000005160: D1C80005 02212F2E
	v_add_u32_e32 v5, v5, v4                                   // 000000005168: 680A0905
	v_cmp_u_f32_e64 s[60:61], v46, v46                         // 00000000516C: D048003C 00025D2E
	v_lshlrev_b32_e32 v46, 23, v5                              // 000000005174: 245C0A97
	v_cndmask_b32_e64 v46, v46, v1, s[60:61]                   // 000000005178: D100002E 00F2032E
	s_mov_b32 s60, 0xffff                                      // 000000005180: BEBC00FF 0000FFFF
	v_cvt_scalef32_pk_fp4_f32 v72, v72, v73, v45               // 000000005188: D23D0048 04B69348
	v_cvt_scalef32_pk_fp4_f32 v72, v74, v75, v45 op_sel:[0,0,1,0]// 000000005190: D23D2048 04B6974A
	v_cvt_scalef32_pk_fp4_f32 v76, v76, v77, v45               // 000000005198: D23D004C 04B69B4C
	v_cvt_scalef32_pk_fp4_f32 v76, v78, v79, v45 op_sel:[0,0,1,0]// 0000000051A0: D23D204C 04B69F4E
	s_nop 1                                                    // 0000000051A8: BF800001
	v_permlane16_swap_b32_e32 v72, v76                         // 0000000051AC: 7E90B34C
	s_nop 1                                                    // 0000000051B0: BF800001
	v_and_b32_e64 v72, v72, s60                                // 0000000051B4: D1130048 00007948
	v_lshlrev_b32_e32 v76, 16, v76                             // 0000000051BC: 24989890
	v_or_b32_e32 v72, v72, v76                                 // 0000000051C0: 28909948
	v_mov_b32_e32 v76, v72                                     // 0000000051C4: 7E980348
	s_nop 1                                                    // 0000000051C8: BF800001
	v_permlane32_swap_b32_e32 v72, v76                         // 0000000051CC: 7E90B54C
	s_nop 1                                                    // 0000000051D0: BF800001
	v_permlane16_swap_b32_e32 v72, v76                         // 0000000051D4: 7E90B34C
	s_nop 1                                                    // 0000000051D8: BF800001
	v_permlane32_swap_b32_e32 v72, v76                         // 0000000051DC: 7E90B54C
	s_nop 1                                                    // 0000000051E0: BF800001
	v_cvt_scalef32_pk_fp4_f32 v104, v104, v105, v46            // 0000000051E4: D23D0068 04BAD368
	v_cvt_scalef32_pk_fp4_f32 v104, v106, v107, v46 op_sel:[0,0,1,0]// 0000000051EC: D23D2068 04BAD76A
	v_cvt_scalef32_pk_fp4_f32 v108, v108, v109, v46            // 0000000051F4: D23D006C 04BADB6C
	v_cvt_scalef32_pk_fp4_f32 v108, v110, v111, v46 op_sel:[0,0,1,0]// 0000000051FC: D23D206C 04BADF6E
	s_nop 1                                                    // 000000005204: BF800001
	v_permlane16_swap_b32_e32 v104, v108                       // 000000005208: 7ED0B36C
	s_nop 1                                                    // 00000000520C: BF800001
	v_and_b32_e64 v104, v104, s60                              // 000000005210: D1130068 00007968
	v_lshlrev_b32_e32 v108, 16, v108                           // 000000005218: 24D8D890
	v_or_b32_e32 v104, v104, v108                              // 00000000521C: 28D0D968
	v_mov_b32_e32 v108, v104                                   // 000000005220: 7ED80368
	s_nop 1                                                    // 000000005224: BF800001
	v_permlane32_swap_b32_e32 v104, v108                       // 000000005228: 7ED0B56C
	s_nop 1                                                    // 00000000522C: BF800001
	v_permlane16_swap_b32_e32 v104, v108                       // 000000005230: 7ED0B36C
	s_nop 1                                                    // 000000005234: BF800001
	v_permlane32_swap_b32_e32 v104, v108                       // 000000005238: 7ED0B56C
	s_nop 1                                                    // 00000000523C: BF800001
	v_mov_b32_e32 v47, 0x358637bd                              // 000000005240: 7E5E02FF 358637BD
	v_mov_b32_e32 v48, 0x358637bd                              // 000000005248: 7E6002FF 358637BD
	v_max3_f32 v47, |v80|, |v81|, v47                          // 000000005250: D1D3032F 04BEA350
	v_max3_f32 v47, |v82|, |v83|, v47                          // 000000005258: D1D3032F 04BEA752
	v_max3_f32 v47, |v84|, |v85|, v47                          // 000000005260: D1D3032F 04BEAB54
	v_max3_f32 v47, |v86|, |v87|, v47                          // 000000005268: D1D3032F 04BEAF56
	v_max3_f32 v48, |v112|, |v113|, v48                        // 000000005270: D1D30330 04C2E370
	v_max3_f32 v48, |v114|, |v115|, v48                        // 000000005278: D1D30330 04C2E772
	v_max3_f32 v48, |v116|, |v117|, v48                        // 000000005280: D1D30330 04C2EB74
	v_max3_f32 v48, |v118|, |v119|, v48                        // 000000005288: D1D30330 04C2EF76
	v_mov_b32_e32 v2, v47                                      // 000000005290: 7E04032F
	s_nop 1                                                    // 000000005294: BF800001
	v_permlane32_swap_b32_e32 v2, v47                          // 000000005298: 7E04B52F
	v_max_f32_e32 v47, v2, v47                                 // 00000000529C: 165E5F02
	v_mov_b32_e32 v2, v47                                      // 0000000052A0: 7E04032F
	s_nop 1                                                    // 0000000052A4: BF800001
	v_permlane16_swap_b32_e32 v2, v47                          // 0000000052A8: 7E04B32F
	v_max_f32_e32 v47, v2, v47                                 // 0000000052AC: 165E5F02
	v_mov_b32_e32 v2, v48                                      // 0000000052B0: 7E040330
	s_nop 1                                                    // 0000000052B4: BF800001
	v_permlane32_swap_b32_e32 v2, v48                          // 0000000052B8: 7E04B530
	v_max_f32_e32 v48, v2, v48                                 // 0000000052BC: 16606102
	v_mov_b32_e32 v2, v48                                      // 0000000052C0: 7E040330
	s_nop 1                                                    // 0000000052C4: BF800001
	v_permlane16_swap_b32_e32 v2, v48                          // 0000000052C8: 7E04B330
	v_max_f32_e32 v48, v2, v48                                 // 0000000052CC: 16606102
	v_mov_b32_e32 v2, 0x3e800000                               // 0000000052D0: 7E0402FF 3E800000
	v_mul_f32_e32 v47, v2, v47                                 // 0000000052D8: 0A5E5F02
	v_mul_f32_e32 v48, v2, v48                                 // 0000000052DC: 0A606102
	v_mov_b32_e32 v1, 0x7fff0000                               // 0000000052E0: 7E0202FF 7FFF0000
	v_mov_b32_e32 v5, 0x7fbfffff                               // 0000000052E8: 7E0A02FF 7FBFFFFF
	v_bfe_u32 v2, v47, 22, 1                                   // 0000000052F0: D1C80002 02052D2F
	v_and_b32_e32 v3, v47, v5                                  // 0000000052F8: 26060B2F
	v_cmp_eq_u32_e64 s[60:61], v3, 0                           // 0000000052FC: D0CA003C 00010103
	v_cndmask_b32_e64 v4, 1, 0, s[60:61]                       // 000000005304: D1000004 00F10081
	v_and_b32_e32 v4, v4, v2                                   // 00000000530C: 26080504
	v_bfe_u32 v5, v47, 23, 8                                   // 000000005310: D1C80005 02212F2F
	v_add_u32_e32 v5, v5, v4                                   // 000000005318: 680A0905
	v_cmp_u_f32_e64 s[60:61], v47, v47                         // 00000000531C: D048003C 00025F2F
	v_lshlrev_b32_e32 v47, 23, v5                              // 000000005324: 245E0A97
	v_cndmask_b32_e64 v47, v47, v1, s[60:61]                   // 000000005328: D100002F 00F2032F
	v_mov_b32_e32 v5, 0x7fbfffff                               // 000000005330: 7E0A02FF 7FBFFFFF
	v_bfe_u32 v2, v48, 22, 1                                   // 000000005338: D1C80002 02052D30
	v_and_b32_e32 v3, v48, v5                                  // 000000005340: 26060B30
	v_cmp_eq_u32_e64 s[60:61], v3, 0                           // 000000005344: D0CA003C 00010103
	v_cndmask_b32_e64 v4, 1, 0, s[60:61]                       // 00000000534C: D1000004 00F10081
	v_and_b32_e32 v4, v4, v2                                   // 000000005354: 26080504
	v_bfe_u32 v5, v48, 23, 8                                   // 000000005358: D1C80005 02212F30
	v_add_u32_e32 v5, v5, v4                                   // 000000005360: 680A0905
	v_cmp_u_f32_e64 s[60:61], v48, v48                         // 000000005364: D048003C 00026130
	v_lshlrev_b32_e32 v48, 23, v5                              // 00000000536C: 24600A97
	v_cndmask_b32_e64 v48, v48, v1, s[60:61]                   // 000000005370: D1000030 00F20330
	s_mov_b32 s60, 0xffff                                      // 000000005378: BEBC00FF 0000FFFF
	v_cvt_scalef32_pk_fp4_f32 v80, v80, v81, v47               // 000000005380: D23D0050 04BEA350
	v_cvt_scalef32_pk_fp4_f32 v80, v82, v83, v47 op_sel:[0,0,1,0]// 000000005388: D23D2050 04BEA752
	v_cvt_scalef32_pk_fp4_f32 v84, v84, v85, v47               // 000000005390: D23D0054 04BEAB54
	v_cvt_scalef32_pk_fp4_f32 v84, v86, v87, v47 op_sel:[0,0,1,0]// 000000005398: D23D2054 04BEAF56
	s_nop 1                                                    // 0000000053A0: BF800001
	v_permlane16_swap_b32_e32 v80, v84                         // 0000000053A4: 7EA0B354
	s_nop 1                                                    // 0000000053A8: BF800001
	v_and_b32_e64 v80, v80, s60                                // 0000000053AC: D1130050 00007950
	v_lshlrev_b32_e32 v84, 16, v84                             // 0000000053B4: 24A8A890
	v_or_b32_e32 v80, v80, v84                                 // 0000000053B8: 28A0A950
	v_mov_b32_e32 v84, v80                                     // 0000000053BC: 7EA80350
	s_nop 1                                                    // 0000000053C0: BF800001
	v_permlane32_swap_b32_e32 v80, v84                         // 0000000053C4: 7EA0B554
	s_nop 1                                                    // 0000000053C8: BF800001
	v_permlane16_swap_b32_e32 v80, v84                         // 0000000053CC: 7EA0B354
	s_nop 1                                                    // 0000000053D0: BF800001
	v_permlane32_swap_b32_e32 v80, v84                         // 0000000053D4: 7EA0B554
	s_nop 1                                                    // 0000000053D8: BF800001
	v_cvt_scalef32_pk_fp4_f32 v112, v112, v113, v48            // 0000000053DC: D23D0070 04C2E370
	v_cvt_scalef32_pk_fp4_f32 v112, v114, v115, v48 op_sel:[0,0,1,0]// 0000000053E4: D23D2070 04C2E772
	v_cvt_scalef32_pk_fp4_f32 v116, v116, v117, v48            // 0000000053EC: D23D0074 04C2EB74
	v_cvt_scalef32_pk_fp4_f32 v116, v118, v119, v48 op_sel:[0,0,1,0]// 0000000053F4: D23D2074 04C2EF76
	s_nop 1                                                    // 0000000053FC: BF800001
	v_permlane16_swap_b32_e32 v112, v116                       // 000000005400: 7EE0B374
	s_nop 1                                                    // 000000005404: BF800001
	v_and_b32_e64 v112, v112, s60                              // 000000005408: D1130070 00007970
	v_lshlrev_b32_e32 v116, 16, v116                           // 000000005410: 24E8E890
	v_or_b32_e32 v112, v112, v116                              // 000000005414: 28E0E970
	v_mov_b32_e32 v116, v112                                   // 000000005418: 7EE80370
	s_nop 1                                                    // 00000000541C: BF800001
	v_permlane32_swap_b32_e32 v112, v116                       // 000000005420: 7EE0B574
	s_nop 1                                                    // 000000005424: BF800001
	v_permlane16_swap_b32_e32 v112, v116                       // 000000005428: 7EE0B374
	s_nop 1                                                    // 00000000542C: BF800001
	v_permlane32_swap_b32_e32 v112, v116                       // 000000005430: 7EE0B574
	s_nop 1                                                    // 000000005434: BF800001
	v_mov_b32_e32 v49, 0x358637bd                              // 000000005438: 7E6202FF 358637BD
	v_mov_b32_e32 v50, 0x358637bd                              // 000000005440: 7E6402FF 358637BD
	v_max3_f32 v49, |v88|, |v89|, v49                          // 000000005448: D1D30331 04C6B358
	v_max3_f32 v49, |v90|, |v91|, v49                          // 000000005450: D1D30331 04C6B75A
	v_max3_f32 v49, |v92|, |v93|, v49                          // 000000005458: D1D30331 04C6BB5C
	v_max3_f32 v49, |v94|, |v95|, v49                          // 000000005460: D1D30331 04C6BF5E
	v_max3_f32 v50, |v120|, |v121|, v50                        // 000000005468: D1D30332 04CAF378
	v_max3_f32 v50, |v122|, |v123|, v50                        // 000000005470: D1D30332 04CAF77A
	v_max3_f32 v50, |v124|, |v125|, v50                        // 000000005478: D1D30332 04CAFB7C
	v_max3_f32 v50, |v126|, |v127|, v50                        // 000000005480: D1D30332 04CAFF7E
	v_mov_b32_e32 v2, v49                                      // 000000005488: 7E040331
	s_nop 1                                                    // 00000000548C: BF800001
	v_permlane32_swap_b32_e32 v2, v49                          // 000000005490: 7E04B531
	v_max_f32_e32 v49, v2, v49                                 // 000000005494: 16626302
	v_mov_b32_e32 v2, v49                                      // 000000005498: 7E040331
	s_nop 1                                                    // 00000000549C: BF800001
	v_permlane16_swap_b32_e32 v2, v49                          // 0000000054A0: 7E04B331
	v_max_f32_e32 v49, v2, v49                                 // 0000000054A4: 16626302
	v_mov_b32_e32 v2, v50                                      // 0000000054A8: 7E040332
	s_nop 1                                                    // 0000000054AC: BF800001
	v_permlane32_swap_b32_e32 v2, v50                          // 0000000054B0: 7E04B532
	v_max_f32_e32 v50, v2, v50                                 // 0000000054B4: 16646502
	v_mov_b32_e32 v2, v50                                      // 0000000054B8: 7E040332
	s_nop 1                                                    // 0000000054BC: BF800001
	v_permlane16_swap_b32_e32 v2, v50                          // 0000000054C0: 7E04B332
	v_max_f32_e32 v50, v2, v50                                 // 0000000054C4: 16646502
	v_mov_b32_e32 v2, 0x3e800000                               // 0000000054C8: 7E0402FF 3E800000
	v_mul_f32_e32 v49, v2, v49                                 // 0000000054D0: 0A626302
	v_mul_f32_e32 v50, v2, v50                                 // 0000000054D4: 0A646502
	v_mov_b32_e32 v1, 0x7fff0000                               // 0000000054D8: 7E0202FF 7FFF0000
	v_mov_b32_e32 v5, 0x7fbfffff                               // 0000000054E0: 7E0A02FF 7FBFFFFF
	v_bfe_u32 v2, v49, 22, 1                                   // 0000000054E8: D1C80002 02052D31
	v_and_b32_e32 v3, v49, v5                                  // 0000000054F0: 26060B31
	v_cmp_eq_u32_e64 s[60:61], v3, 0                           // 0000000054F4: D0CA003C 00010103
	v_cndmask_b32_e64 v4, 1, 0, s[60:61]                       // 0000000054FC: D1000004 00F10081
	v_and_b32_e32 v4, v4, v2                                   // 000000005504: 26080504
	v_bfe_u32 v5, v49, 23, 8                                   // 000000005508: D1C80005 02212F31
	v_add_u32_e32 v5, v5, v4                                   // 000000005510: 680A0905
	v_cmp_u_f32_e64 s[60:61], v49, v49                         // 000000005514: D048003C 00026331
	v_lshlrev_b32_e32 v49, 23, v5                              // 00000000551C: 24620A97
	v_cndmask_b32_e64 v49, v49, v1, s[60:61]                   // 000000005520: D1000031 00F20331
	v_mov_b32_e32 v5, 0x7fbfffff                               // 000000005528: 7E0A02FF 7FBFFFFF
	v_bfe_u32 v2, v50, 22, 1                                   // 000000005530: D1C80002 02052D32
	v_and_b32_e32 v3, v50, v5                                  // 000000005538: 26060B32
	v_cmp_eq_u32_e64 s[60:61], v3, 0                           // 00000000553C: D0CA003C 00010103
	v_cndmask_b32_e64 v4, 1, 0, s[60:61]                       // 000000005544: D1000004 00F10081
	v_and_b32_e32 v4, v4, v2                                   // 00000000554C: 26080504
	v_bfe_u32 v5, v50, 23, 8                                   // 000000005550: D1C80005 02212F32
	v_add_u32_e32 v5, v5, v4                                   // 000000005558: 680A0905
	v_cmp_u_f32_e64 s[60:61], v50, v50                         // 00000000555C: D048003C 00026532
	v_lshlrev_b32_e32 v50, 23, v5                              // 000000005564: 24640A97
	v_cndmask_b32_e64 v50, v50, v1, s[60:61]                   // 000000005568: D1000032 00F20332
	s_mov_b32 s60, 0xffff                                      // 000000005570: BEBC00FF 0000FFFF
	v_cvt_scalef32_pk_fp4_f32 v88, v88, v89, v49               // 000000005578: D23D0058 04C6B358
	v_cvt_scalef32_pk_fp4_f32 v88, v90, v91, v49 op_sel:[0,0,1,0]// 000000005580: D23D2058 04C6B75A
	v_cvt_scalef32_pk_fp4_f32 v92, v92, v93, v49               // 000000005588: D23D005C 04C6BB5C
	v_cvt_scalef32_pk_fp4_f32 v92, v94, v95, v49 op_sel:[0,0,1,0]// 000000005590: D23D205C 04C6BF5E
	s_nop 1                                                    // 000000005598: BF800001
	v_permlane16_swap_b32_e32 v88, v92                         // 00000000559C: 7EB0B35C
	s_nop 1                                                    // 0000000055A0: BF800001
	v_and_b32_e64 v88, v88, s60                                // 0000000055A4: D1130058 00007958
	v_lshlrev_b32_e32 v92, 16, v92                             // 0000000055AC: 24B8B890
	v_or_b32_e32 v88, v88, v92                                 // 0000000055B0: 28B0B958
	v_mov_b32_e32 v92, v88                                     // 0000000055B4: 7EB80358
	s_nop 1                                                    // 0000000055B8: BF800001
	v_permlane32_swap_b32_e32 v88, v92                         // 0000000055BC: 7EB0B55C
	s_nop 1                                                    // 0000000055C0: BF800001
	v_permlane16_swap_b32_e32 v88, v92                         // 0000000055C4: 7EB0B35C
	s_nop 1                                                    // 0000000055C8: BF800001
	v_permlane32_swap_b32_e32 v88, v92                         // 0000000055CC: 7EB0B55C
	s_nop 1                                                    // 0000000055D0: BF800001
	v_cvt_scalef32_pk_fp4_f32 v120, v120, v121, v50            // 0000000055D4: D23D0078 04CAF378
	v_cvt_scalef32_pk_fp4_f32 v120, v122, v123, v50 op_sel:[0,0,1,0]// 0000000055DC: D23D2078 04CAF77A
	v_cvt_scalef32_pk_fp4_f32 v124, v124, v125, v50            // 0000000055E4: D23D007C 04CAFB7C
	v_cvt_scalef32_pk_fp4_f32 v124, v126, v127, v50 op_sel:[0,0,1,0]// 0000000055EC: D23D207C 04CAFF7E
	s_nop 1                                                    // 0000000055F4: BF800001
	v_permlane16_swap_b32_e32 v120, v124                       // 0000000055F8: 7EF0B37C
	s_nop 1                                                    // 0000000055FC: BF800001
	v_and_b32_e64 v120, v120, s60                              // 000000005600: D1130078 00007978
	v_lshlrev_b32_e32 v124, 16, v124                           // 000000005608: 24F8F890
	v_or_b32_e32 v120, v120, v124                              // 00000000560C: 28F0F978
	v_mov_b32_e32 v124, v120                                   // 000000005610: 7EF80378
	s_nop 1                                                    // 000000005614: BF800001
	v_permlane32_swap_b32_e32 v120, v124                       // 000000005618: 7EF0B57C
	s_nop 1                                                    // 00000000561C: BF800001
	v_permlane16_swap_b32_e32 v120, v124                       // 000000005620: 7EF0B37C
	s_nop 1                                                    // 000000005624: BF800001
	v_permlane32_swap_b32_e32 v120, v124                       // 000000005628: 7EF0B57C
	s_nop 1                                                    // 00000000562C: BF800001
	v_lshrrev_b32_e32 v2, 5, v0                                // 000000005630: 20040085
	v_lshlrev_b32_e32 v3, 6, v2                                // 000000005634: 24060486
	v_and_b32_e32 v2, 31, v0                                   // 000000005638: 2604009F
	v_lshrrev_b32_e32 v4, 4, v2                                // 00000000563C: 20080484
	v_add_u32_e32 v3, v4, v3                                   // 000000005640: 68060704
	v_and_b32_e32 v2, 15, v0                                   // 000000005644: 2604008F
	v_lshlrev_b32_e32 v2, 1, v2                                // 000000005648: 24040481
	v_add_u32_e32 v3, v2, v3                                   // 00000000564C: 68060702
	v_lshlrev_b32_e32 v2, 2, v3                                // 000000005650: 24040682
	s_mov_b32 s60, 0                                           // 000000005654: BEBC0080
	s_lshr_b32 s61, s7, 1                                      // 000000005658: 8F3D8107
	s_mul_i32 s61, s61, 0x200                                  // 00000000565C: 923DFF3D 00000200
	s_add_u32 s60, s61, s60                                    // 000000005664: 803C3C3D
	s_and_b32 s61, s7, 1                                       // 000000005668: 863D8107
	s_mul_i32 s61, s61, 0x80                                   // 00000000566C: 923DFF3D 00000080
	s_add_u32 s60, s61, s60                                    // 000000005674: 803C3C3D
	v_add_u32_e64 v2, v2, s60                                  // 000000005678: D1340002 00007902
	ds_write_b32 v2, v64                                       // 000000005680: D81A0000 00004002
	ds_write_b32 v2, v72 offset:1024                           // 000000005688: D81A0400 00004802
	ds_write_b32 v2, v80 offset:2048                           // 000000005690: D81A0800 00005002
	ds_write_b32 v2, v88 offset:3072                           // 000000005698: D81A0C00 00005802
	ds_write_b32 v2, v96 offset:4096                           // 0000000056A0: D81A1000 00006002
	ds_write_b32 v2, v104 offset:5120                          // 0000000056A8: D81A1400 00006802
	ds_write_b32 v2, v112 offset:6144                          // 0000000056B0: D81A1800 00007002
	ds_write_b32 v2, v120 offset:7168                          // 0000000056B8: D81A1C00 00007802
	s_waitcnt lgkmcnt(0)                                       // 0000000056C0: BF8CC07F
	s_barrier                                                  // 0000000056C4: BF8A0000
	v_and_b32_e32 v2, 31, v0                                   // 0000000056C8: 2604009F
	v_lshrrev_b32_e32 v2, 4, v2                                // 0000000056CC: 20040484
	v_lshlrev_b32_e32 v3, 5, v2                                // 0000000056D0: 24060485
	v_lshrrev_b32_e32 v2, 5, v0                                // 0000000056D4: 20040085
	v_lshlrev_b32_e32 v2, 7, v2                                // 0000000056D8: 24040487
	v_add_u32_e32 v3, v2, v3                                   // 0000000056DC: 68060702
	v_and_b32_e32 v2, 15, v0                                   // 0000000056E0: 2604008F
	v_lshlrev_b32_e32 v2, 1, v2                                // 0000000056E4: 24040481
	v_add_u32_e32 v3, v2, v3                                   // 0000000056E8: 68060702
	v_lshlrev_b32_e32 v2, 2, v3                                // 0000000056EC: 24040682
	ds_read_b64 v[64:65], v2                                   // 0000000056F0: D8EC0000 40000002
	ds_read_b64 v[66:67], v2 offset:256                        // 0000000056F8: D8EC0100 42000002
	ds_read_b64 v[68:69], v2 offset:1024                       // 000000005700: D8EC0400 44000002
	ds_read_b64 v[70:71], v2 offset:1280                       // 000000005708: D8EC0500 46000002
	ds_read_b64 v[72:73], v2 offset:2048                       // 000000005710: D8EC0800 48000002
	ds_read_b64 v[74:75], v2 offset:2304                       // 000000005718: D8EC0900 4A000002
	ds_read_b64 v[76:77], v2 offset:3072                       // 000000005720: D8EC0C00 4C000002
	ds_read_b64 v[78:79], v2 offset:3328                       // 000000005728: D8EC0D00 4E000002
	ds_read_b64 v[80:81], v2 offset:4096                       // 000000005730: D8EC1000 50000002
	ds_read_b64 v[82:83], v2 offset:4352                       // 000000005738: D8EC1100 52000002
	ds_read_b64 v[84:85], v2 offset:5120                       // 000000005740: D8EC1400 54000002
	ds_read_b64 v[86:87], v2 offset:5376                       // 000000005748: D8EC1500 56000002
	ds_read_b64 v[88:89], v2 offset:6144                       // 000000005750: D8EC1800 58000002
	ds_read_b64 v[90:91], v2 offset:6400                       // 000000005758: D8EC1900 5A000002
	ds_read_b64 v[92:93], v2 offset:7168                       // 000000005760: D8EC1C00 5C000002
	ds_read_b64 v[94:95], v2 offset:7424                       // 000000005768: D8EC1D00 5E000002
	s_waitcnt lgkmcnt(0)                                       // 000000005770: BF8CC07F
	s_barrier                                                  // 000000005774: BF8A0000
	v_lshrrev_b32_e32 v2, 5, v0                                // 000000005778: 20040085
	v_lshlrev_b32_e32 v3, 6, v2                                // 00000000577C: 24060486
	v_and_b32_e32 v2, 31, v0                                   // 000000005780: 2604009F
	v_lshrrev_b32_e32 v4, 4, v2                                // 000000005784: 20080484
	v_add_u32_e32 v3, v4, v3                                   // 000000005788: 68060704
	v_and_b32_e32 v2, 15, v0                                   // 00000000578C: 2604008F
	v_lshlrev_b32_e32 v2, 1, v2                                // 000000005790: 24040481
	v_add_u32_e32 v3, v2, v3                                   // 000000005794: 68060702
	v_lshlrev_b32_e32 v2, 2, v3                                // 000000005798: 24040682
	s_mov_b32 s60, 0                                           // 00000000579C: BEBC0080
	s_lshr_b32 s61, s7, 1                                      // 0000000057A0: 8F3D8107
	s_mul_i32 s61, s61, 0x200                                  // 0000000057A4: 923DFF3D 00000200
	s_add_u32 s60, s61, s60                                    // 0000000057AC: 803C3C3D
	s_and_b32 s61, s7, 1                                       // 0000000057B0: 863D8107
	s_mul_i32 s61, s61, 0x80                                   // 0000000057B4: 923DFF3D 00000080
	s_add_u32 s60, s61, s60                                    // 0000000057BC: 803C3C3D
	v_add_u32_e64 v2, v2, s60                                  // 0000000057C0: D1340002 00007902
	ds_write_b32 v2, v43                                       // 0000000057C8: D81A0000 00002B02
	ds_write_b32 v2, v45 offset:1024                           // 0000000057D0: D81A0400 00002D02
	ds_write_b32 v2, v47 offset:2048                           // 0000000057D8: D81A0800 00002F02
	ds_write_b32 v2, v49 offset:3072                           // 0000000057E0: D81A0C00 00003102
	ds_write_b32 v2, v44 offset:4096                           // 0000000057E8: D81A1000 00002C02
	ds_write_b32 v2, v46 offset:5120                           // 0000000057F0: D81A1400 00002E02
	ds_write_b32 v2, v48 offset:6144                           // 0000000057F8: D81A1800 00003002
	ds_write_b32 v2, v50 offset:7168                           // 000000005800: D81A1C00 00003202
	s_waitcnt lgkmcnt(0)                                       // 000000005808: BF8CC07F
	s_barrier                                                  // 00000000580C: BF8A0000
	v_and_b32_e32 v2, 31, v0                                   // 000000005810: 2604009F
	v_lshrrev_b32_e32 v2, 4, v2                                // 000000005814: 20040484
	v_lshlrev_b32_e32 v3, 5, v2                                // 000000005818: 24060485
	v_lshrrev_b32_e32 v2, 5, v0                                // 00000000581C: 20040085
	v_lshlrev_b32_e32 v2, 7, v2                                // 000000005820: 24040487
	v_add_u32_e32 v3, v2, v3                                   // 000000005824: 68060702
	v_and_b32_e32 v2, 15, v0                                   // 000000005828: 2604008F
	v_lshlrev_b32_e32 v2, 1, v2                                // 00000000582C: 24040481
	v_add_u32_e32 v3, v2, v3                                   // 000000005830: 68060702
	v_lshlrev_b32_e32 v2, 2, v3                                // 000000005834: 24040682
	ds_read_b32 v43, v2                                        // 000000005838: D86C0000 2B000002
	ds_read_b32 v45, v2 offset:1024                            // 000000005840: D86C0400 2D000002
	ds_read_b32 v47, v2 offset:2048                            // 000000005848: D86C0800 2F000002
	ds_read_b32 v49, v2 offset:3072                            // 000000005850: D86C0C00 31000002
	ds_read_b32 v44, v2 offset:4096                            // 000000005858: D86C1000 2C000002
	ds_read_b32 v46, v2 offset:5120                            // 000000005860: D86C1400 2E000002
	ds_read_b32 v48, v2 offset:6144                            // 000000005868: D86C1800 30000002
	ds_read_b32 v50, v2 offset:7168                            // 000000005870: D86C1C00 32000002
	s_waitcnt lgkmcnt(0)                                       // 000000005878: BF8CC07F
	s_barrier                                                  // 00000000587C: BF8A0000
	v_bfe_u32 v43, v43, 23, 8                                  // 000000005880: D1C8002B 02212F2B
	v_bfe_u32 v44, v44, 23, 8                                  // 000000005888: D1C8002C 02212F2C
	v_bfe_u32 v45, v45, 23, 8                                  // 000000005890: D1C8002D 02212F2D
	v_bfe_u32 v46, v46, 23, 8                                  // 000000005898: D1C8002E 02212F2E
	v_bfe_u32 v47, v47, 23, 8                                  // 0000000058A0: D1C8002F 02212F2F
	v_bfe_u32 v48, v48, 23, 8                                  // 0000000058A8: D1C80030 02212F30
	v_bfe_u32 v49, v49, 23, 8                                  // 0000000058B0: D1C80031 02212F31
	v_bfe_u32 v50, v50, 23, 8                                  // 0000000058B8: D1C80032 02212F32
	v_mov_b32_e32 v2, 0                                        // 0000000058C0: 7E040280
	v_lshlrev_b32_e32 v43, 0, v43                              // 0000000058C4: 24565680
	v_or_b32_e32 v2, v2, v43                                   // 0000000058C8: 28045702
	v_lshlrev_b32_e32 v44, 8, v44                              // 0000000058CC: 24585888
	v_or_b32_e32 v2, v2, v44                                   // 0000000058D0: 28045902
	v_lshlrev_b32_e32 v45, 16, v45                             // 0000000058D4: 245A5A90
	v_or_b32_e32 v2, v2, v45                                   // 0000000058D8: 28045B02
	v_lshlrev_b32_e32 v46, 24, v46                             // 0000000058DC: 245C5C98
	v_or_b32_e32 v2, v2, v46                                   // 0000000058E0: 28045D02
	v_mov_b32_e32 v43, v2                                      // 0000000058E4: 7E560302
	v_mov_b32_e32 v2, 0                                        // 0000000058E8: 7E040280
	v_lshlrev_b32_e32 v47, 0, v47                              // 0000000058EC: 245E5E80
	v_or_b32_e32 v2, v2, v47                                   // 0000000058F0: 28045F02
	v_lshlrev_b32_e32 v48, 8, v48                              // 0000000058F4: 24606088
	v_or_b32_e32 v2, v2, v48                                   // 0000000058F8: 28046102
	v_lshlrev_b32_e32 v49, 16, v49                             // 0000000058FC: 24626290
	v_or_b32_e32 v2, v2, v49                                   // 000000005900: 28046302
	v_lshlrev_b32_e32 v50, 24, v50                             // 000000005904: 24646498
	v_or_b32_e32 v2, v2, v50                                   // 000000005908: 28046502
	v_mov_b32_e32 v44, v2                                      // 00000000590C: 7E580302
	s_add_u32 s12, s56, s12                                    // 000000005910: 800C0C38
	s_addc_u32 s13, 0, s13                                     // 000000005914: 820D0D80
	s_add_u32 s16, s79, s16                                    // 000000005918: 8010104F
	s_addc_u32 s17, 0, s17                                     // 00000000591C: 82111180
	s_waitcnt lgkmcnt(0)                                       // 000000005920: BF8CC07F
	s_barrier                                                  // 000000005924: BF8A0000
	v_mov_b32_e32 v160, 0                                      // 000000005928: 7F400280
	v_mov_b32_e32 v192, 0                                      // 00000000592C: 7F800280
	v_mov_b32_e32 v161, 0                                      // 000000005930: 7F420280
	v_mov_b32_e32 v193, 0                                      // 000000005934: 7F820280
	v_mov_b32_e32 v162, 0                                      // 000000005938: 7F440280
	v_mov_b32_e32 v194, 0                                      // 00000000593C: 7F840280
	v_mov_b32_e32 v163, 0                                      // 000000005940: 7F460280
	v_mov_b32_e32 v195, 0                                      // 000000005944: 7F860280
	v_mov_b32_e32 v164, 0                                      // 000000005948: 7F480280
	v_mov_b32_e32 v196, 0                                      // 00000000594C: 7F880280
	v_mov_b32_e32 v165, 0                                      // 000000005950: 7F4A0280
	v_mov_b32_e32 v197, 0                                      // 000000005954: 7F8A0280
	v_mov_b32_e32 v166, 0                                      // 000000005958: 7F4C0280
	v_mov_b32_e32 v198, 0                                      // 00000000595C: 7F8C0280
	v_mov_b32_e32 v167, 0                                      // 000000005960: 7F4E0280
	v_mov_b32_e32 v199, 0                                      // 000000005964: 7F8E0280
	v_mov_b32_e32 v168, 0                                      // 000000005968: 7F500280
	v_mov_b32_e32 v200, 0                                      // 00000000596C: 7F900280
	v_mov_b32_e32 v169, 0                                      // 000000005970: 7F520280
	v_mov_b32_e32 v201, 0                                      // 000000005974: 7F920280
	v_mov_b32_e32 v170, 0                                      // 000000005978: 7F540280
	v_mov_b32_e32 v202, 0                                      // 00000000597C: 7F940280
	v_mov_b32_e32 v171, 0                                      // 000000005980: 7F560280
	v_mov_b32_e32 v203, 0                                      // 000000005984: 7F960280
	v_mov_b32_e32 v172, 0                                      // 000000005988: 7F580280
	v_mov_b32_e32 v204, 0                                      // 00000000598C: 7F980280
	v_mov_b32_e32 v173, 0                                      // 000000005990: 7F5A0280
	v_mov_b32_e32 v205, 0                                      // 000000005994: 7F9A0280
	v_mov_b32_e32 v174, 0                                      // 000000005998: 7F5C0280
	v_mov_b32_e32 v206, 0                                      // 00000000599C: 7F9C0280
	v_mov_b32_e32 v175, 0                                      // 0000000059A0: 7F5E0280
	v_mov_b32_e32 v207, 0                                      // 0000000059A4: 7F9E0280
	ds_write_b64 v8, v[160:161]                                // 0000000059A8: D89A0000 0000A008
	ds_write_b64 v8, v[162:163] offset:8704                    // 0000000059B0: D89A2200 0000A208
	ds_write_b64 v8, v[164:165] offset:544                     // 0000000059B8: D89A0220 0000A408
	ds_write_b64 v8, v[166:167] offset:9248                    // 0000000059C0: D89A2420 0000A608
	ds_write_b64 v8, v[168:169] offset:4352                    // 0000000059C8: D89A1100 0000A808
	ds_write_b64 v8, v[170:171] offset:13056                   // 0000000059D0: D89A3300 0000AA08
	ds_write_b64 v8, v[172:173] offset:4896                    // 0000000059D8: D89A1320 0000AC08
	ds_write_b64 v8, v[174:175] offset:13600                   // 0000000059E0: D89A3520 0000AE08
	s_mov_b32 s80, 0                                           // 0000000059E8: BED00080
	s_waitcnt vmcnt(0) expcnt(0) lgkmcnt(0)                    // 0000000059EC: BF8C0000

00000000000059f0 <label_0AFC>:
	s_waitcnt vmcnt(30) lgkmcnt(0)                             // 0000000059F0: BF8C407E
	s_barrier                                                  // 0000000059F4: BF8A0000
	v_mfma_scale_f32_16x16x128_f8f6f4 v[160:163], a[0:3], v[64:67], 0, v25, v43 op_sel_hi:[0,0,0] cbsz:4 blgp:4// 0000000059F8: D3AC6000 00025719 D3AD0CA0 8A028100
	ds_read_b32 v128, v9                                       // 000000005A08: D86C0000 80000009
	ds_read_b32 v129, v9 offset:4352                           // 000000005A10: D86C1100 81000009
	ds_read_b32 v130, v9 offset:8                              // 000000005A18: D86C0008 82000009
	ds_read_b32 v131, v9 offset:4360                           // 000000005A20: D86C1108 83000009
	v_mfma_scale_f32_16x16x128_f8f6f4 v[164:167], a[0:3], v[80:83], 0, v25, v43 op_sel_hi:[0,0,0] cbsz:4 blgp:4// 000000005A28: D3AC7000 00025719 D3AD0CA4 8A02A100
	buffer_load_dwordx4 a[64:67], v60, s[12:15], 0 offen       // 000000005A38: E05C1000 8083403C
	v_mfma_scale_f32_16x16x128_f8f6f4 v[168:171], a[4:7], v[64:67], 0, v25, v43 op_sel_hi:[0,0,0] cbsz:4 blgp:4// 000000005A40: D3AC6800 00025719 D3AD0CA8 8A028104
	ds_read_b32 v132, v9 offset:32                             // 000000005A50: D86C0020 84000009
	ds_read_b32 v133, v9 offset:4384                           // 000000005A58: D86C1120 85000009
	ds_read_b32 v134, v9 offset:40                             // 000000005A60: D86C0028 86000009
	ds_read_b32 v135, v9 offset:4392                           // 000000005A68: D86C1128 87000009
	v_mfma_scale_f32_16x16x128_f8f6f4 v[172:175], a[4:7], v[80:83], 0, v25, v43 op_sel_hi:[0,0,0] cbsz:4 blgp:4// 000000005A70: D3AC7800 00025719 D3AD0CAC 8A02A104
	buffer_load_dwordx4 a[68:71], v61, s[12:15], 0 offen       // 000000005A80: E05C1000 8083443D
	buffer_load_dword v29, v10, s[16:19], 0 offen              // 000000005A88: E0501000 80041D0A
	buffer_load_dword v30, v11, s[16:19], 0 offen              // 000000005A90: E0501000 80041E0B
	buffer_load_dword v31, v10, s[16:19], 0 offen offset:256   // 000000005A98: E0501100 80041F0A
	buffer_load_dword v32, v11, s[16:19], 0 offen offset:256   // 000000005AA0: E0501100 8004200B
	s_waitcnt vmcnt(34)                                        // 000000005AA8: BF8C8F72
	v_mfma_scale_f32_16x16x128_f8f6f4 v[176:179], a[8:11], v[64:67], 0, v26, v43 op_sel_hi:[0,0,0] cbsz:4 blgp:4// 000000005AAC: D3AC6000 0002571A D3AD0CB0 8A028108
	ds_read_b32 v136, v9 offset:8704                           // 000000005ABC: D86C2200 88000009
	ds_read_b32 v137, v9 offset:13056                          // 000000005AC4: D86C3300 89000009
	ds_read_b32 v138, v9 offset:8712                           // 000000005ACC: D86C2208 8A000009
	ds_read_b32 v139, v9 offset:13064                          // 000000005AD4: D86C3308 8B000009
	v_mfma_scale_f32_16x16x128_f8f6f4 v[180:183], a[8:11], v[80:83], 0, v26, v43 op_sel_hi:[0,0,0] cbsz:4 blgp:4// 000000005ADC: D3AC7000 0002571A D3AD0CB4 8A02A108
	buffer_load_dwordx4 a[72:75], v62, s[12:15], 0 offen       // 000000005AEC: E05C1000 8083483E
	v_mfma_scale_f32_16x16x128_f8f6f4 v[184:187], a[12:15], v[64:67], 0, v26, v43 op_sel_hi:[0,0,0] cbsz:4 blgp:4// 000000005AF4: D3AC6800 0002571A D3AD0CB8 8A02810C
	ds_read_b32 v140, v9 offset:8736                           // 000000005B04: D86C2220 8C000009
	ds_read_b32 v141, v9 offset:13088                          // 000000005B0C: D86C3320 8D000009
	ds_read_b32 v142, v9 offset:8744                           // 000000005B14: D86C2228 8E000009
	ds_read_b32 v143, v9 offset:13096                          // 000000005B1C: D86C3328 8F000009
	v_mfma_scale_f32_16x16x128_f8f6f4 v[188:191], a[12:15], v[80:83], 0, v26, v43 op_sel_hi:[0,0,0] cbsz:4 blgp:4// 000000005B24: D3AC7800 0002571A D3AD0CBC 8A02A10C
	buffer_load_dwordx4 a[76:79], v63, s[12:15], 0 offen       // 000000005B34: E05C1000 80834C3F
	buffer_load_dword v31, v10, s[16:19], 0 offen offset:256   // 000000005B3C: E0501100 80041F0A
	buffer_load_dword v32, v11, s[16:19], 0 offen offset:256   // 000000005B44: E0501100 8004200B
	s_waitcnt vmcnt(34)                                        // 000000005B4C: BF8C8F72
	v_mfma_scale_f32_16x16x128_f8f6f4 v[160:163], a[16:19], v[68:71], v[160:163], v25, v43 op_sel_hi:[0,0,0] cbsz:4 blgp:4// 000000005B50: D3AC6000 18025719 D3AD0CA0 8E828910
	ds_write_b64 v8, v[192:193] offset:17408                   // 000000005B60: D89A4400 0000C008
	ds_write_b64 v8, v[194:195] offset:26112                   // 000000005B68: D89A6600 0000C208
	v_mfma_scale_f32_16x16x128_f8f6f4 v[164:167], a[16:19], v[84:87], v[164:167], v25, v43 op_sel_hi:[0,0,0] cbsz:4 blgp:4// 000000005B70: D3AC7000 18025719 D3AD0CA4 8E92A910
	buffer_load_dwordx4 a[80:83], v60, s[12:15], 0 offen offset:1024// 000000005B80: E05C1400 8083503C
	v_mfma_scale_f32_16x16x128_f8f6f4 v[168:171], a[20:23], v[68:71], v[168:171], v25, v43 op_sel_hi:[0,0,0] cbsz:4 blgp:4// 000000005B88: D3AC6800 18025719 D3AD0CA8 8EA28914
	ds_write_b64 v8, v[196:197] offset:17952                   // 000000005B98: D89A4620 0000C408
	ds_write_b64 v8, v[198:199] offset:26656                   // 000000005BA0: D89A6820 0000C608
	v_mfma_scale_f32_16x16x128_f8f6f4 v[172:175], a[20:23], v[84:87], v[172:175], v25, v43 op_sel_hi:[0,0,0] cbsz:4 blgp:4// 000000005BA8: D3AC7800 18025719 D3AD0CAC 8EB2A914
	buffer_load_dwordx4 a[84:87], v61, s[12:15], 0 offen offset:1024// 000000005BB8: E05C1400 8083543D
	s_waitcnt vmcnt(34)                                        // 000000005BC0: BF8C8F72
	v_mfma_scale_f32_16x16x128_f8f6f4 v[176:179], a[24:27], v[68:71], v[176:179], v26, v43 op_sel_hi:[0,0,0] cbsz:4 blgp:4// 000000005BC4: D3AC0000 1802571A D3AD0CB0 8EC28918
	ds_write_b64 v8, v[200:201] offset:21760                   // 000000005BD4: D89A5500 0000C808
	ds_write_b64 v8, v[202:203] offset:30464                   // 000000005BDC: D89A7700 0000CA08
	v_mfma_scale_f32_16x16x128_f8f6f4 v[180:183], a[24:27], v[84:87], v[180:183], v26, v43 op_sel_hi:[0,0,0] cbsz:4 blgp:4// 000000005BE4: D3AC7000 1802571A D3AD0CB4 8ED2A918
	buffer_load_dwordx4 a[88:91], v62, s[12:15], 0 offen offset:1024// 000000005BF4: E05C1400 8083583E
	v_mfma_scale_f32_16x16x128_f8f6f4 v[184:187], a[28:31], v[68:71], v[184:187], v26, v43 op_sel_hi:[0,0,0] cbsz:4 blgp:4// 000000005BFC: D3AC6800 1802571A D3AD0CB8 8EE2891C
	ds_write_b64 v8, v[204:205] offset:22304                   // 000000005C0C: D89A5720 0000CC08
	ds_write_b64 v8, v[206:207] offset:31008                   // 000000005C14: D89A7920 0000CE08
	v_mfma_scale_f32_16x16x128_f8f6f4 v[188:191], a[28:31], v[84:87], v[188:191], v26, v43 op_sel_hi:[0,0,0] cbsz:4 blgp:4// 000000005C1C: D3AC7800 1802571A D3AD0CBC 8EF2A91C
	buffer_load_dwordx4 a[92:95], v63, s[12:15], 0 offen offset:1024// 000000005C2C: E05C1400 80835C3F
	s_waitcnt vmcnt(34)                                        // 000000005C34: BF8C8F72
	v_mfma_scale_f32_16x16x128_f8f6f4 v[160:163], a[32:35], v[72:75], v[160:163], v27, v44 op_sel_hi:[0,0,0] cbsz:4 blgp:4// 000000005C38: D3AC6000 0002591B D3AD0CA0 8E829120
	v_mfma_scale_f32_16x16x128_f8f6f4 v[164:167], a[32:35], v[88:91], v[164:167], v27, v44 op_sel_hi:[0,0,0] cbsz:4 blgp:4// 000000005C48: D3AC7000 0002591B D3AD0CA4 8E92B120
	buffer_load_dwordx4 a[96:99], v60, s[12:15], 0 offen offset:2048// 000000005C58: E05C1800 8083603C
	v_mfma_scale_f32_16x16x128_f8f6f4 v[168:171], a[36:39], v[72:75], v[168:171], v27, v44 op_sel_hi:[0,0,0] cbsz:4 blgp:4// 000000005C60: D3AC6800 0002591B D3AD0CA8 8EA29124
	v_mfma_scale_f32_16x16x128_f8f6f4 v[172:175], a[36:39], v[88:91], v[172:175], v27, v44 op_sel_hi:[0,0,0] cbsz:4 blgp:4// 000000005C70: D3AC7800 0002591B D3AD0CAC 8EB2B124
	buffer_load_dwordx4 a[100:103], v61, s[12:15], 0 offen offset:2048// 000000005C80: E05C1800 8083643D
	s_waitcnt vmcnt(34)                                        // 000000005C88: BF8C8F72
	v_mfma_scale_f32_16x16x128_f8f6f4 v[176:179], a[40:43], v[72:75], v[176:179], v28, v44 op_sel_hi:[0,0,0] cbsz:4 blgp:4// 000000005C8C: D3AC6000 0002591C D3AD0CB0 8EC29128
	v_mfma_scale_f32_16x16x128_f8f6f4 v[180:183], a[40:43], v[88:91], v[180:183], v28, v44 op_sel_hi:[0,0,0] cbsz:4 blgp:4// 000000005C9C: D3AC7000 0002591C D3AD0CB4 8ED2B128
	buffer_load_dwordx4 a[104:107], v62, s[12:15], 0 offen offset:2048// 000000005CAC: E05C1800 8083683E
	v_mfma_scale_f32_16x16x128_f8f6f4 v[184:187], a[44:47], v[72:75], v[184:187], v28, v44 op_sel_hi:[0,0,0] cbsz:4 blgp:4// 000000005CB4: D3AC6800 0002591C D3AD0CB8 8EE2912C
	v_mfma_scale_f32_16x16x128_f8f6f4 v[188:191], a[44:47], v[88:91], v[188:191], v28, v44 op_sel_hi:[0,0,0] cbsz:4 blgp:4// 000000005CC4: D3AC7800 0002591C D3AD0CBC 8EF2B12C
	buffer_load_dwordx4 a[108:111], v63, s[12:15], 0 offen offset:2048// 000000005CD4: E05C1800 80836C3F
	s_waitcnt vmcnt(34)                                        // 000000005CDC: BF8C8F72
	v_mfma_scale_f32_16x16x128_f8f6f4 v[160:163], a[48:51], v[76:79], v[160:163], v27, v44 op_sel_hi:[0,0,0] cbsz:4 blgp:4// 000000005CE0: D3AC6000 1802591B D3AD0CA0 8E829930
	v_mfma_scale_f32_16x16x128_f8f6f4 v[164:167], a[48:51], v[92:95], v[164:167], v27, v44 op_sel_hi:[0,0,0] cbsz:4 blgp:4// 000000005CF0: D3AC7000 1802591B D3AD0CA4 8E92B930
	buffer_load_dwordx4 a[112:115], v60, s[12:15], 0 offen offset:3072// 000000005D00: E05C1C00 8083703C
	v_mfma_scale_f32_16x16x128_f8f6f4 v[168:171], a[52:55], v[76:79], v[168:171], v27, v44 op_sel_hi:[0,0,0] cbsz:4 blgp:4// 000000005D08: D3AC6800 1802591B D3AD0CA8 8EA29934
	v_mfma_scale_f32_16x16x128_f8f6f4 v[172:175], a[52:55], v[92:95], v[172:175], v27, v44 op_sel_hi:[0,0,0] cbsz:4 blgp:4// 000000005D18: D3AC7800 1802591B D3AD0CAC 8EB2B934
	buffer_load_dwordx4 a[116:119], v61, s[12:15], 0 offen offset:3072// 000000005D28: E05C1C00 8083743D
	s_waitcnt vmcnt(34)                                        // 000000005D30: BF8C8F72
	v_mfma_scale_f32_16x16x128_f8f6f4 v[176:179], a[56:59], v[76:79], v[176:179], v28, v44 op_sel_hi:[0,0,0] cbsz:4 blgp:4// 000000005D34: D3AC6000 1802591C D3AD0CB0 8EC29938
	v_mfma_scale_f32_16x16x128_f8f6f4 v[180:183], a[56:59], v[92:95], v[180:183], v28, v44 op_sel_hi:[0,0,0] cbsz:4 blgp:4// 000000005D44: D3AC7000 1802591C D3AD0CB4 8ED2B938
	buffer_load_dwordx4 a[120:123], v62, s[12:15], 0 offen offset:3072// 000000005D54: E05C1C00 8083783E
	v_mfma_scale_f32_16x16x128_f8f6f4 v[184:187], a[60:63], v[76:79], v[184:187], v28, v44 op_sel_hi:[0,0,0] cbsz:4 blgp:4// 000000005D5C: D3AC6800 1802591C D3AD0CB8 8EE2993C
	v_mfma_scale_f32_16x16x128_f8f6f4 v[188:191], a[60:63], v[92:95], v[188:191], v28, v44 op_sel_hi:[0,0,0] cbsz:4 blgp:4// 000000005D6C: D3AC7800 1802591C D3AD0CBC 8EF2B93C
	buffer_load_dwordx4 a[124:127], v63, s[12:15], 0 offen offset:3072// 000000005D7C: E05C1C00 80837C3F
	s_add_u32 s60, 0x200, s80                                  // 000000005D84: 803C50FF 00000200
	s_cmp_lt_u32 s60, s81                                      // 000000005D8C: BF0A513C
	s_cselect_b32 s56, s56, 0                                  // 000000005D90: 85388038
	s_cselect_b32 s78, s78, 0                                  // 000000005D94: 854E804E
	s_cselect_b32 s79, s79, 0                                  // 000000005D98: 854F804F
	s_add_u32 s12, s56, s12                                    // 000000005D9C: 800C0C38
	s_addc_u32 s13, 0, s13                                     // 000000005DA0: 820D0D80
	s_add_u32 s16, s79, s16                                    // 000000005DA4: 8010104F
	s_addc_u32 s17, 0, s17                                     // 000000005DA8: 82111180
	v_mov_b32_e32 v2, v41                                      // 000000005DAC: 7E040329
	v_mov_b32_e32 v3, v41                                      // 000000005DB0: 7E060329
	v_pk_mul_f32 v[160:161], v[2:3], v[160:161]                // 000000005DB4: D3B140A0 18034102
	v_pk_mul_f32 v[162:163], v[2:3], v[162:163]                // 000000005DBC: D3B140A2 18034502
	v_pk_mul_f32 v[168:169], v[2:3], v[168:169]                // 000000005DC4: D3B140A8 18035102
	v_pk_mul_f32 v[170:171], v[2:3], v[170:171]                // 000000005DCC: D3B140AA 18035502
	v_pk_mul_f32 v[176:177], v[2:3], v[176:177]                // 000000005DD4: D3B140B0 18036102
	v_pk_mul_f32 v[178:179], v[2:3], v[178:179]                // 000000005DDC: D3B140B2 18036502
	v_pk_mul_f32 v[184:185], v[2:3], v[184:185]                // 000000005DE4: D3B140B8 18037102
	v_pk_mul_f32 v[186:187], v[2:3], v[186:187]                // 000000005DEC: D3B140BA 18037502
	v_mov_b32_e32 v2, v42                                      // 000000005DF4: 7E04032A
	v_mov_b32_e32 v3, v42                                      // 000000005DF8: 7E06032A
	v_pk_mul_f32 v[164:165], v[2:3], v[164:165]                // 000000005DFC: D3B140A4 18034902
	v_pk_mul_f32 v[166:167], v[2:3], v[166:167]                // 000000005E04: D3B140A6 18034D02
	v_pk_mul_f32 v[172:173], v[2:3], v[172:173]                // 000000005E0C: D3B140AC 18035902
	v_pk_mul_f32 v[174:175], v[2:3], v[174:175]                // 000000005E14: D3B140AE 18035D02
	v_pk_mul_f32 v[180:181], v[2:3], v[180:181]                // 000000005E1C: D3B140B4 18036902
	v_pk_mul_f32 v[182:183], v[2:3], v[182:183]                // 000000005E24: D3B140B6 18036D02
	v_pk_mul_f32 v[188:189], v[2:3], v[188:189]                // 000000005E2C: D3B140BC 18037902
	v_pk_mul_f32 v[190:191], v[2:3], v[190:191]                // 000000005E34: D3B140BE 18037D02
	v_cvt_pk_bf16_f32 v160, v160, v161                         // 000000005E3C: D26800A0 000343A0
	v_cvt_pk_bf16_f32 v161, v162, v163                         // 000000005E44: D26800A1 000347A2
	v_cvt_pk_bf16_f32 v162, v164, v165                         // 000000005E4C: D26800A2 00034BA4
	v_cvt_pk_bf16_f32 v163, v166, v167                         // 000000005E54: D26800A3 00034FA6
	v_cvt_pk_bf16_f32 v164, v168, v169                         // 000000005E5C: D26800A4 000353A8
	v_cvt_pk_bf16_f32 v165, v170, v171                         // 000000005E64: D26800A5 000357AA
	v_cvt_pk_bf16_f32 v166, v172, v173                         // 000000005E6C: D26800A6 00035BAC
	v_cvt_pk_bf16_f32 v167, v174, v175                         // 000000005E74: D26800A7 00035FAE
	v_cvt_pk_bf16_f32 v168, v176, v177                         // 000000005E7C: D26800A8 000363B0
	v_cvt_pk_bf16_f32 v169, v178, v179                         // 000000005E84: D26800A9 000367B2
	v_cvt_pk_bf16_f32 v170, v180, v181                         // 000000005E8C: D26800AA 00036BB4
	v_cvt_pk_bf16_f32 v171, v182, v183                         // 000000005E94: D26800AB 00036FB6
	v_cvt_pk_bf16_f32 v172, v184, v185                         // 000000005E9C: D26800AC 000373B8
	v_cvt_pk_bf16_f32 v173, v186, v187                         // 000000005EA4: D26800AD 000377BA
	v_cvt_pk_bf16_f32 v174, v188, v189                         // 000000005EAC: D26800AE 00037BBC
	v_cvt_pk_bf16_f32 v175, v190, v191                         // 000000005EB4: D26800AF 00037FBE
	s_cmp_ge_u32 s80, 0x200                                    // 000000005EBC: BF09FF50 00000200
	s_cselect_b32 s59, 0x200, s59                              // 000000005EC4: 853B3BFF 00000200
	s_mov_b64 exec, s[20:21]                                   // 000000005ECC: BEFE0114
	global_atomic_pk_add_bf16 v144, v128, s[8:9]               // 000000005ED0: DD488000 00088090
	s_mov_b64 exec, s[36:37]                                   // 000000005ED8: BEFE0124
	s_mov_b64 exec, s[20:21]                                   // 000000005EDC: BEFE0114
	global_atomic_pk_add_bf16 v144, v129, s[8:9] offset:256    // 000000005EE0: DD488100 00088190
	s_mov_b64 exec, s[36:37]                                   // 000000005EE8: BEFE0124
	s_mov_b64 exec, s[22:23]                                   // 000000005EEC: BEFE0116
	global_atomic_pk_add_bf16 v146, v130, s[8:9]               // 000000005EF0: DD488000 00088292
	s_mov_b64 exec, s[36:37]                                   // 000000005EF8: BEFE0124
	s_mov_b64 exec, s[22:23]                                   // 000000005EFC: BEFE0116
	global_atomic_pk_add_bf16 v146, v131, s[8:9] offset:256    // 000000005F00: DD488100 00088392
	s_mov_b64 exec, s[36:37]                                   // 000000005F08: BEFE0124
	s_mov_b64 exec, s[24:25]                                   // 000000005F0C: BEFE0118
	global_atomic_pk_add_bf16 v148, v132, s[8:9]               // 000000005F10: DD488000 00088494
	s_mov_b64 exec, s[36:37]                                   // 000000005F18: BEFE0124
	s_mov_b64 exec, s[24:25]                                   // 000000005F1C: BEFE0118
	global_atomic_pk_add_bf16 v148, v133, s[8:9] offset:256    // 000000005F20: DD488100 00088594
	s_mov_b64 exec, s[36:37]                                   // 000000005F28: BEFE0124
	s_mov_b64 exec, s[26:27]                                   // 000000005F2C: BEFE011A
	global_atomic_pk_add_bf16 v150, v134, s[8:9]               // 000000005F30: DD488000 00088696
	s_mov_b64 exec, s[36:37]                                   // 000000005F38: BEFE0124
	s_mov_b64 exec, s[26:27]                                   // 000000005F3C: BEFE011A
	global_atomic_pk_add_bf16 v150, v135, s[8:9] offset:256    // 000000005F40: DD488100 00088796
	s_mov_b64 exec, s[36:37]                                   // 000000005F48: BEFE0124
	s_mov_b64 exec, s[28:29]                                   // 000000005F4C: BEFE011C
	global_atomic_pk_add_bf16 v152, v136, s[8:9]               // 000000005F50: DD488000 00088898
	s_mov_b64 exec, s[36:37]                                   // 000000005F58: BEFE0124
	s_mov_b64 exec, s[28:29]                                   // 000000005F5C: BEFE011C
	global_atomic_pk_add_bf16 v152, v137, s[8:9] offset:256    // 000000005F60: DD488100 00088998
	s_mov_b64 exec, s[36:37]                                   // 000000005F68: BEFE0124
	s_mov_b64 exec, s[30:31]                                   // 000000005F6C: BEFE011E
	global_atomic_pk_add_bf16 v154, v138, s[8:9]               // 000000005F70: DD488000 00088A9A
	s_mov_b64 exec, s[36:37]                                   // 000000005F78: BEFE0124
	s_mov_b64 exec, s[30:31]                                   // 000000005F7C: BEFE011E
	global_atomic_pk_add_bf16 v154, v139, s[8:9] offset:256    // 000000005F80: DD488100 00088B9A
	s_mov_b64 exec, s[36:37]                                   // 000000005F88: BEFE0124
	s_mov_b64 exec, s[32:33]                                   // 000000005F8C: BEFE0120
	global_atomic_pk_add_bf16 v156, v140, s[8:9]               // 000000005F90: DD488000 00088C9C
	s_mov_b64 exec, s[36:37]                                   // 000000005F98: BEFE0124
	s_mov_b64 exec, s[32:33]                                   // 000000005F9C: BEFE0120
	global_atomic_pk_add_bf16 v156, v141, s[8:9] offset:256    // 000000005FA0: DD488100 00088D9C
	s_mov_b64 exec, s[36:37]                                   // 000000005FA8: BEFE0124
	s_mov_b64 exec, s[34:35]                                   // 000000005FAC: BEFE0122
	global_atomic_pk_add_bf16 v158, v142, s[8:9]               // 000000005FB0: DD488000 00088E9E
	s_mov_b64 exec, s[36:37]                                   // 000000005FB8: BEFE0124
	s_mov_b64 exec, s[34:35]                                   // 000000005FBC: BEFE0122
	global_atomic_pk_add_bf16 v158, v143, s[8:9] offset:256    // 000000005FC0: DD488100 00088F9E
	s_mov_b64 exec, s[36:37]                                   // 000000005FC8: BEFE0124
	s_add_u32 s8, s59, s8                                      // 000000005FCC: 8008083B
	s_addc_u32 s9, 0, s9                                       // 000000005FD0: 82090980
	s_addk_i32 s80, 0x100                                      // 000000005FD4: B7500100
	s_cmp_lt_i32 s80, s81                                      // 000000005FD8: BF045150
	s_cbranch_scc0 label_0DF5                                  // 000000005FDC: BF84017D
	s_waitcnt vmcnt(30) lgkmcnt(0)                             // 000000005FE0: BF8C407E
	s_barrier                                                  // 000000005FE4: BF8A0000
	v_mfma_scale_f32_16x16x128_f8f6f4 v[192:195], a[64:67], v[64:67], 0, v29, v43 op_sel_hi:[0,0,0] cbsz:4 blgp:4// 000000005FE8: D3AC6000 0002571D D3AD0CC0 8A028140
	ds_read_b32 v128, v9 offset:17408                          // 000000005FF8: D86C4400 80000009
	ds_read_b32 v129, v9 offset:21760                          // 000000006000: D86C5500 81000009
	ds_read_b32 v130, v9 offset:17416                          // 000000006008: D86C4408 82000009
	ds_read_b32 v131, v9 offset:21768                          // 000000006010: D86C5508 83000009
	v_mfma_scale_f32_16x16x128_f8f6f4 v[196:199], a[64:67], v[80:83], 0, v29, v43 op_sel_hi:[0,0,0] cbsz:4 blgp:4// 000000006018: D3AC7000 0002571D D3AD0CC4 8A02A140
	buffer_load_dwordx4 a[0:3], v60, s[12:15], 0 offen         // 000000006028: E05C1000 8083003C
	v_mfma_scale_f32_16x16x128_f8f6f4 v[200:203], a[68:71], v[64:67], 0, v29, v43 op_sel_hi:[0,0,0] cbsz:4 blgp:4// 000000006030: D3AC6800 0002571D D3AD0CC8 8A028144
	ds_read_b32 v132, v9 offset:17440                          // 000000006040: D86C4420 84000009
	ds_read_b32 v133, v9 offset:21792                          // 000000006048: D86C5520 85000009
	ds_read_b32 v134, v9 offset:17448                          // 000000006050: D86C4428 86000009
	ds_read_b32 v135, v9 offset:21800                          // 000000006058: D86C5528 87000009
	v_mfma_scale_f32_16x16x128_f8f6f4 v[204:207], a[68:71], v[80:83], 0, v29, v43 op_sel_hi:[0,0,0] cbsz:4 blgp:4// 000000006060: D3AC7800 0002571D D3AD0CCC 8A02A144
	buffer_load_dwordx4 a[4:7], v61, s[12:15], 0 offen         // 000000006070: E05C1000 8083043D
	buffer_load_dword v25, v10, s[16:19], 0 offen              // 000000006078: E0501000 8004190A
	buffer_load_dword v26, v11, s[16:19], 0 offen              // 000000006080: E0501000 80041A0B
	buffer_load_dword v27, v10, s[16:19], 0 offen offset:256   // 000000006088: E0501100 80041B0A
	buffer_load_dword v28, v11, s[16:19], 0 offen offset:256   // 000000006090: E0501100 80041C0B
	s_waitcnt vmcnt(34)                                        // 000000006098: BF8C8F72
	v_mfma_scale_f32_16x16x128_f8f6f4 v[208:211], a[72:75], v[64:67], 0, v30, v43 op_sel_hi:[0,0,0] cbsz:4 blgp:4// 00000000609C: D3AC6000 0002571E D3AD0CD0 8A028148
	ds_read_b32 v136, v9 offset:26112                          // 0000000060AC: D86C6600 88000009
	ds_read_b32 v137, v9 offset:30464                          // 0000000060B4: D86C7700 89000009
	ds_read_b32 v138, v9 offset:26120                          // 0000000060BC: D86C6608 8A000009
	ds_read_b32 v139, v9 offset:30472                          // 0000000060C4: D86C7708 8B000009
	v_mfma_scale_f32_16x16x128_f8f6f4 v[212:215], a[72:75], v[80:83], 0, v30, v43 op_sel_hi:[0,0,0] cbsz:4 blgp:4// 0000000060CC: D3AC7000 0002571E D3AD0CD4 8A02A148
	buffer_load_dwordx4 a[8:11], v62, s[12:15], 0 offen        // 0000000060DC: E05C1000 8083083E
	v_mfma_scale_f32_16x16x128_f8f6f4 v[216:219], a[76:79], v[64:67], 0, v30, v43 op_sel_hi:[0,0,0] cbsz:4 blgp:4// 0000000060E4: D3AC6800 0002571E D3AD0CD8 8A02814C
	ds_read_b32 v140, v9 offset:26144                          // 0000000060F4: D86C6620 8C000009
	ds_read_b32 v141, v9 offset:30496                          // 0000000060FC: D86C7720 8D000009
	ds_read_b32 v142, v9 offset:26152                          // 000000006104: D86C6628 8E000009
	ds_read_b32 v143, v9 offset:30504                          // 00000000610C: D86C7728 8F000009
	v_mfma_scale_f32_16x16x128_f8f6f4 v[220:223], a[76:79], v[80:83], 0, v30, v43 op_sel_hi:[0,0,0] cbsz:4 blgp:4// 000000006114: D3AC7800 0002571E D3AD0CDC 8A02A14C
	buffer_load_dwordx4 a[12:15], v63, s[12:15], 0 offen       // 000000006124: E05C1000 80830C3F
	buffer_load_dword v27, v10, s[16:19], 0 offen offset:256   // 00000000612C: E0501100 80041B0A
	buffer_load_dword v28, v11, s[16:19], 0 offen offset:256   // 000000006134: E0501100 80041C0B
	s_waitcnt vmcnt(34)                                        // 00000000613C: BF8C8F72
	v_mfma_scale_f32_16x16x128_f8f6f4 v[192:195], a[80:83], v[68:71], v[192:195], v29, v43 op_sel_hi:[0,0,0] cbsz:4 blgp:4// 000000006140: D3AC6000 1802571D D3AD0CC0 8F028950
	ds_write_b64 v8, v[160:161]                                // 000000006150: D89A0000 0000A008
	ds_write_b64 v8, v[162:163] offset:8704                    // 000000006158: D89A2200 0000A208
	v_mfma_scale_f32_16x16x128_f8f6f4 v[196:199], a[80:83], v[84:87], v[196:199], v29, v43 op_sel_hi:[0,0,0] cbsz:4 blgp:4// 000000006160: D3AC7000 1802571D D3AD0CC4 8F12A950
	buffer_load_dwordx4 a[16:19], v60, s[12:15], 0 offen offset:1024// 000000006170: E05C1400 8083103C
	v_mfma_scale_f32_16x16x128_f8f6f4 v[200:203], a[84:87], v[68:71], v[200:203], v29, v43 op_sel_hi:[0,0,0] cbsz:4 blgp:4// 000000006178: D3AC6800 1802571D D3AD0CC8 8F228954
	ds_write_b64 v8, v[164:165] offset:544                     // 000000006188: D89A0220 0000A408
	ds_write_b64 v8, v[166:167] offset:9248                    // 000000006190: D89A2420 0000A608
	v_mfma_scale_f32_16x16x128_f8f6f4 v[204:207], a[84:87], v[84:87], v[204:207], v29, v43 op_sel_hi:[0,0,0] cbsz:4 blgp:4// 000000006198: D3AC7800 1802571D D3AD0CCC 8F32A954
	buffer_load_dwordx4 a[20:23], v61, s[12:15], 0 offen offset:1024// 0000000061A8: E05C1400 8083143D
	s_waitcnt vmcnt(34)                                        // 0000000061B0: BF8C8F72
	v_mfma_scale_f32_16x16x128_f8f6f4 v[208:211], a[88:91], v[68:71], v[208:211], v30, v43 op_sel_hi:[0,0,0] cbsz:4 blgp:4// 0000000061B4: D3AC6000 1802571E D3AD0CD0 8F428958
	ds_write_b64 v8, v[168:169] offset:4352                    // 0000000061C4: D89A1100 0000A808
	ds_write_b64 v8, v[170:171] offset:13056                   // 0000000061CC: D89A3300 0000AA08
	v_mfma_scale_f32_16x16x128_f8f6f4 v[212:215], a[88:91], v[84:87], v[212:215], v30, v43 op_sel_hi:[0,0,0] cbsz:4 blgp:4// 0000000061D4: D3AC7000 1802571E D3AD0CD4 8F52A958
	buffer_load_dwordx4 a[24:27], v62, s[12:15], 0 offen offset:1024// 0000000061E4: E05C1400 8083183E
	v_mfma_scale_f32_16x16x128_f8f6f4 v[216:219], a[92:95], v[68:71], v[216:219], v30, v43 op_sel_hi:[0,0,0] cbsz:4 blgp:4// 0000000061EC: D3AC6800 1802571E D3AD0CD8 8F62895C
	ds_write_b64 v8, v[172:173] offset:4896                    // 0000000061FC: D89A1320 0000AC08
	ds_write_b64 v8, v[174:175] offset:13600                   // 000000006204: D89A3520 0000AE08
	v_mfma_scale_f32_16x16x128_f8f6f4 v[220:223], a[92:95], v[84:87], v[220:223], v30, v43 op_sel_hi:[0,0,0] cbsz:4 blgp:4// 00000000620C: D3AC7800 1802571E D3AD0CDC 8F72A95C
	buffer_load_dwordx4 a[28:31], v63, s[12:15], 0 offen offset:1024// 00000000621C: E05C1400 80831C3F
	s_waitcnt vmcnt(34)                                        // 000000006224: BF8C8F72
	v_mfma_scale_f32_16x16x128_f8f6f4 v[192:195], a[96:99], v[72:75], v[192:195], v31, v44 op_sel_hi:[0,0,0] cbsz:4 blgp:4// 000000006228: D3AC6000 0002591F D3AD0CC0 8F029160
	v_mfma_scale_f32_16x16x128_f8f6f4 v[196:199], a[96:99], v[88:91], v[196:199], v31, v44 op_sel_hi:[0,0,0] cbsz:4 blgp:4// 000000006238: D3AC7000 0002591F D3AD0CC4 8F12B160
	buffer_load_dwordx4 a[32:35], v60, s[12:15], 0 offen offset:2048// 000000006248: E05C1800 8083203C
	v_mfma_scale_f32_16x16x128_f8f6f4 v[200:203], a[100:103], v[72:75], v[200:203], v31, v44 op_sel_hi:[0,0,0] cbsz:4 blgp:4// 000000006250: D3AC6800 0002591F D3AD0CC8 8F229164
	v_mfma_scale_f32_16x16x128_f8f6f4 v[204:207], a[100:103], v[88:91], v[204:207], v31, v44 op_sel_hi:[0,0,0] cbsz:4 blgp:4// 000000006260: D3AC7800 0002591F D3AD0CCC 8F32B164
	buffer_load_dwordx4 a[36:39], v61, s[12:15], 0 offen offset:2048// 000000006270: E05C1800 8083243D
	s_waitcnt vmcnt(34)                                        // 000000006278: BF8C8F72
	v_mfma_scale_f32_16x16x128_f8f6f4 v[208:211], a[104:107], v[72:75], v[208:211], v32, v44 op_sel_hi:[0,0,0] cbsz:4 blgp:4// 00000000627C: D3AC6000 00025920 D3AD0CD0 8F429168
	v_mfma_scale_f32_16x16x128_f8f6f4 v[212:215], a[104:107], v[88:91], v[212:215], v32, v44 op_sel_hi:[0,0,0] cbsz:4 blgp:4// 00000000628C: D3AC7000 00025920 D3AD0CD4 8F52B168
	buffer_load_dwordx4 a[40:43], v62, s[12:15], 0 offen offset:2048// 00000000629C: E05C1800 8083283E
	v_mfma_scale_f32_16x16x128_f8f6f4 v[216:219], a[108:111], v[72:75], v[216:219], v32, v44 op_sel_hi:[0,0,0] cbsz:4 blgp:4// 0000000062A4: D3AC6800 00025920 D3AD0CD8 8F62916C
	v_mfma_scale_f32_16x16x128_f8f6f4 v[220:223], a[108:111], v[88:91], v[220:223], v32, v44 op_sel_hi:[0,0,0] cbsz:4 blgp:4// 0000000062B4: D3AC7800 00025920 D3AD0CDC 8F72B16C
	buffer_load_dwordx4 a[44:47], v63, s[12:15], 0 offen offset:2048// 0000000062C4: E05C1800 80832C3F
	s_waitcnt vmcnt(34)                                        // 0000000062CC: BF8C8F72
	v_mfma_scale_f32_16x16x128_f8f6f4 v[192:195], a[112:115], v[76:79], v[192:195], v31, v44 op_sel_hi:[0,0,0] cbsz:4 blgp:4// 0000000062D0: D3AC6000 1802591F D3AD0CC0 8F029970
	v_mfma_scale_f32_16x16x128_f8f6f4 v[196:199], a[112:115], v[92:95], v[196:199], v31, v44 op_sel_hi:[0,0,0] cbsz:4 blgp:4// 0000000062E0: D3AC7000 1802591F D3AD0CC4 8F12B970
	buffer_load_dwordx4 a[48:51], v60, s[12:15], 0 offen offset:3072// 0000000062F0: E05C1C00 8083303C
	v_mfma_scale_f32_16x16x128_f8f6f4 v[200:203], a[116:119], v[76:79], v[200:203], v31, v44 op_sel_hi:[0,0,0] cbsz:4 blgp:4// 0000000062F8: D3AC6800 1802591F D3AD0CC8 8F229974
	v_mfma_scale_f32_16x16x128_f8f6f4 v[204:207], a[116:119], v[92:95], v[204:207], v31, v44 op_sel_hi:[0,0,0] cbsz:4 blgp:4// 000000006308: D3AC7800 1802591F D3AD0CCC 8F32B974
	buffer_load_dwordx4 a[52:55], v61, s[12:15], 0 offen offset:3072// 000000006318: E05C1C00 8083343D
	s_waitcnt vmcnt(34)                                        // 000000006320: BF8C8F72
	v_mfma_scale_f32_16x16x128_f8f6f4 v[208:211], a[120:123], v[76:79], v[208:211], v32, v44 op_sel_hi:[0,0,0] cbsz:4 blgp:4// 000000006324: D3AC6000 18025920 D3AD0CD0 8F429978
	v_mfma_scale_f32_16x16x128_f8f6f4 v[212:215], a[120:123], v[92:95], v[212:215], v32, v44 op_sel_hi:[0,0,0] cbsz:4 blgp:4// 000000006334: D3AC7000 18025920 D3AD0CD4 8F52B978
	buffer_load_dwordx4 a[56:59], v62, s[12:15], 0 offen offset:3072// 000000006344: E05C1C00 8083383E
	v_mfma_scale_f32_16x16x128_f8f6f4 v[216:219], a[124:127], v[76:79], v[216:219], v32, v44 op_sel_hi:[0,0,0] cbsz:4 blgp:4// 00000000634C: D3AC6800 18025920 D3AD0CD8 8F62997C
	v_mfma_scale_f32_16x16x128_f8f6f4 v[220:223], a[124:127], v[92:95], v[220:223], v32, v44 op_sel_hi:[0,0,0] cbsz:4 blgp:4// 00000000635C: D3AC7800 18025920 D3AD0CDC 8F72B97C
	buffer_load_dwordx4 a[60:63], v63, s[12:15], 0 offen offset:3072// 00000000636C: E05C1C00 80833C3F
	s_add_u32 s60, 0x200, s80                                  // 000000006374: 803C50FF 00000200
	s_cmp_lt_u32 s60, s81                                      // 00000000637C: BF0A513C
	s_cselect_b32 s56, s56, 0                                  // 000000006380: 85388038
	s_cselect_b32 s78, s78, 0                                  // 000000006384: 854E804E
	s_cselect_b32 s79, s79, 0                                  // 000000006388: 854F804F
	s_add_u32 s12, s56, s12                                    // 00000000638C: 800C0C38
	s_addc_u32 s13, 0, s13                                     // 000000006390: 820D0D80
	s_add_u32 s16, s79, s16                                    // 000000006394: 8010104F
	s_addc_u32 s17, 0, s17                                     // 000000006398: 82111180
	v_mov_b32_e32 v2, v41                                      // 00000000639C: 7E040329
	v_mov_b32_e32 v3, v41                                      // 0000000063A0: 7E060329
	v_pk_mul_f32 v[192:193], v[2:3], v[192:193]                // 0000000063A4: D3B140C0 18038102
	v_pk_mul_f32 v[194:195], v[2:3], v[194:195]                // 0000000063AC: D3B140C2 18038502
	v_pk_mul_f32 v[200:201], v[2:3], v[200:201]                // 0000000063B4: D3B140C8 18039102
	v_pk_mul_f32 v[202:203], v[2:3], v[202:203]                // 0000000063BC: D3B140CA 18039502
	v_pk_mul_f32 v[208:209], v[2:3], v[208:209]                // 0000000063C4: D3B140D0 1803A102
	v_pk_mul_f32 v[210:211], v[2:3], v[210:211]                // 0000000063CC: D3B140D2 1803A502
	v_pk_mul_f32 v[216:217], v[2:3], v[216:217]                // 0000000063D4: D3B140D8 1803B102
	v_pk_mul_f32 v[218:219], v[2:3], v[218:219]                // 0000000063DC: D3B140DA 1803B502
	v_mov_b32_e32 v2, v42                                      // 0000000063E4: 7E04032A
	v_mov_b32_e32 v3, v42                                      // 0000000063E8: 7E06032A
	v_pk_mul_f32 v[196:197], v[2:3], v[196:197]                // 0000000063EC: D3B140C4 18038902
	v_pk_mul_f32 v[198:199], v[2:3], v[198:199]                // 0000000063F4: D3B140C6 18038D02
	v_pk_mul_f32 v[204:205], v[2:3], v[204:205]                // 0000000063FC: D3B140CC 18039902
	v_pk_mul_f32 v[206:207], v[2:3], v[206:207]                // 000000006404: D3B140CE 18039D02
	v_pk_mul_f32 v[212:213], v[2:3], v[212:213]                // 00000000640C: D3B140D4 1803A902
	v_pk_mul_f32 v[214:215], v[2:3], v[214:215]                // 000000006414: D3B140D6 1803AD02
	v_pk_mul_f32 v[220:221], v[2:3], v[220:221]                // 00000000641C: D3B140DC 1803B902
	v_pk_mul_f32 v[222:223], v[2:3], v[222:223]                // 000000006424: D3B140DE 1803BD02
	v_cvt_pk_bf16_f32 v192, v192, v193                         // 00000000642C: D26800C0 000383C0
	v_cvt_pk_bf16_f32 v193, v194, v195                         // 000000006434: D26800C1 000387C2
	v_cvt_pk_bf16_f32 v194, v196, v197                         // 00000000643C: D26800C2 00038BC4
	v_cvt_pk_bf16_f32 v195, v198, v199                         // 000000006444: D26800C3 00038FC6
	v_cvt_pk_bf16_f32 v196, v200, v201                         // 00000000644C: D26800C4 000393C8
	v_cvt_pk_bf16_f32 v197, v202, v203                         // 000000006454: D26800C5 000397CA
	v_cvt_pk_bf16_f32 v198, v204, v205                         // 00000000645C: D26800C6 00039BCC
	v_cvt_pk_bf16_f32 v199, v206, v207                         // 000000006464: D26800C7 00039FCE
	v_cvt_pk_bf16_f32 v200, v208, v209                         // 00000000646C: D26800C8 0003A3D0
	v_cvt_pk_bf16_f32 v201, v210, v211                         // 000000006474: D26800C9 0003A7D2
	v_cvt_pk_bf16_f32 v202, v212, v213                         // 00000000647C: D26800CA 0003ABD4
	v_cvt_pk_bf16_f32 v203, v214, v215                         // 000000006484: D26800CB 0003AFD6
	v_cvt_pk_bf16_f32 v204, v216, v217                         // 00000000648C: D26800CC 0003B3D8
	v_cvt_pk_bf16_f32 v205, v218, v219                         // 000000006494: D26800CD 0003B7DA
	v_cvt_pk_bf16_f32 v206, v220, v221                         // 00000000649C: D26800CE 0003BBDC
	v_cvt_pk_bf16_f32 v207, v222, v223                         // 0000000064A4: D26800CF 0003BFDE
	s_cmp_ge_u32 s80, 0x200                                    // 0000000064AC: BF09FF50 00000200
	s_cselect_b32 s59, 0x200, s59                              // 0000000064B4: 853B3BFF 00000200
	s_mov_b64 exec, s[20:21]                                   // 0000000064BC: BEFE0114
	global_atomic_pk_add_bf16 v144, v128, s[8:9]               // 0000000064C0: DD488000 00088090
	s_mov_b64 exec, s[36:37]                                   // 0000000064C8: BEFE0124
	s_mov_b64 exec, s[20:21]                                   // 0000000064CC: BEFE0114
	global_atomic_pk_add_bf16 v144, v129, s[8:9] offset:256    // 0000000064D0: DD488100 00088190
	s_mov_b64 exec, s[36:37]                                   // 0000000064D8: BEFE0124
	s_mov_b64 exec, s[22:23]                                   // 0000000064DC: BEFE0116
	global_atomic_pk_add_bf16 v146, v130, s[8:9]               // 0000000064E0: DD488000 00088292
	s_mov_b64 exec, s[36:37]                                   // 0000000064E8: BEFE0124
	s_mov_b64 exec, s[22:23]                                   // 0000000064EC: BEFE0116
	global_atomic_pk_add_bf16 v146, v131, s[8:9] offset:256    // 0000000064F0: DD488100 00088392
	s_mov_b64 exec, s[36:37]                                   // 0000000064F8: BEFE0124
	s_mov_b64 exec, s[24:25]                                   // 0000000064FC: BEFE0118
	global_atomic_pk_add_bf16 v148, v132, s[8:9]               // 000000006500: DD488000 00088494
	s_mov_b64 exec, s[36:37]                                   // 000000006508: BEFE0124
	s_mov_b64 exec, s[24:25]                                   // 00000000650C: BEFE0118
	global_atomic_pk_add_bf16 v148, v133, s[8:9] offset:256    // 000000006510: DD488100 00088594
	s_mov_b64 exec, s[36:37]                                   // 000000006518: BEFE0124
	s_mov_b64 exec, s[26:27]                                   // 00000000651C: BEFE011A
	global_atomic_pk_add_bf16 v150, v134, s[8:9]               // 000000006520: DD488000 00088696
	s_mov_b64 exec, s[36:37]                                   // 000000006528: BEFE0124
	s_mov_b64 exec, s[26:27]                                   // 00000000652C: BEFE011A
	global_atomic_pk_add_bf16 v150, v135, s[8:9] offset:256    // 000000006530: DD488100 00088796
	s_mov_b64 exec, s[36:37]                                   // 000000006538: BEFE0124
	s_mov_b64 exec, s[28:29]                                   // 00000000653C: BEFE011C
	global_atomic_pk_add_bf16 v152, v136, s[8:9]               // 000000006540: DD488000 00088898
	s_mov_b64 exec, s[36:37]                                   // 000000006548: BEFE0124
	s_mov_b64 exec, s[28:29]                                   // 00000000654C: BEFE011C
	global_atomic_pk_add_bf16 v152, v137, s[8:9] offset:256    // 000000006550: DD488100 00088998
	s_mov_b64 exec, s[36:37]                                   // 000000006558: BEFE0124
	s_mov_b64 exec, s[30:31]                                   // 00000000655C: BEFE011E
	global_atomic_pk_add_bf16 v154, v138, s[8:9]               // 000000006560: DD488000 00088A9A
	s_mov_b64 exec, s[36:37]                                   // 000000006568: BEFE0124
	s_mov_b64 exec, s[30:31]                                   // 00000000656C: BEFE011E
	global_atomic_pk_add_bf16 v154, v139, s[8:9] offset:256    // 000000006570: DD488100 00088B9A
	s_mov_b64 exec, s[36:37]                                   // 000000006578: BEFE0124
	s_mov_b64 exec, s[32:33]                                   // 00000000657C: BEFE0120
	global_atomic_pk_add_bf16 v156, v140, s[8:9]               // 000000006580: DD488000 00088C9C
	s_mov_b64 exec, s[36:37]                                   // 000000006588: BEFE0124
	s_mov_b64 exec, s[32:33]                                   // 00000000658C: BEFE0120
	global_atomic_pk_add_bf16 v156, v141, s[8:9] offset:256    // 000000006590: DD488100 00088D9C
	s_mov_b64 exec, s[36:37]                                   // 000000006598: BEFE0124
	s_mov_b64 exec, s[34:35]                                   // 00000000659C: BEFE0122
	global_atomic_pk_add_bf16 v158, v142, s[8:9]               // 0000000065A0: DD488000 00088E9E
	s_mov_b64 exec, s[36:37]                                   // 0000000065A8: BEFE0124
	s_mov_b64 exec, s[34:35]                                   // 0000000065AC: BEFE0122
	global_atomic_pk_add_bf16 v158, v143, s[8:9] offset:256    // 0000000065B0: DD488100 00088F9E
	s_mov_b64 exec, s[36:37]                                   // 0000000065B8: BEFE0124
	s_add_u32 s8, s59, s8                                      // 0000000065BC: 8008083B
	s_addc_u32 s9, 0, s9                                       // 0000000065C0: 82090980
	s_addk_i32 s80, 0x100                                      // 0000000065C4: B7500100
	s_cmp_lt_i32 s80, s81                                      // 0000000065C8: BF045150
	s_cbranch_scc0 label_0DF5                                  // 0000000065CC: BF840001
	s_branch label_0AFC                                        // 0000000065D0: BF82FD07

00000000000065d4 <label_0DF5>:
	s_nop 0                                                    // 0000000065D4: BF800000
	s_nop 0                                                    // 0000000065D8: BF800000
	s_branch label_195C                                        // 0000000065DC: BF820B64

00000000000065e0 <label_0DF8>:
	s_waitcnt vmcnt(14) lgkmcnt(0)                             // 0000000065E0: BF8C007E
	s_barrier                                                  // 0000000065E4: BF8A0000
	v_mfma_scale_f32_16x16x128_f8f6f4 v[64:67], a[0:3], v[192:195], v[64:67], v25, v23 op_sel_hi:[0,0,0] cbsz:4 blgp:4// 0000000065E8: D3AC6000 00022F19 D3AD0C40 8D038100
	buffer_load_dwordx4 a[64:67], v52, s[92:95], 0 offen       // 0000000065F8: E05C1000 80974034
	buffer_load_dwordx4 v51, s[20:23], 0 offen lds             // 000000006600: E05D1000 80050033
	s_add_u32 m0, 0, s50                                       // 000000006608: 807C3280
	v_mfma_scale_f32_16x16x128_f8f6f4 v[96:99], a[0:3], v[200:203], v[96:99], v25, v23 op_sel_hi:[0,0,0] cbsz:4 blgp:4// 00000000660C: D3AC7000 00022F19 D3AD0C60 8D839100
	v_mfma_scale_f32_16x16x128_f8f6f4 v[68:71], a[4:7], v[192:195], v[68:71], v25, v23 op_sel_hi:[0,0,0] cbsz:4 blgp:4// 00000000661C: D3AC6800 00022F19 D3AD0C44 8D138104
	buffer_load_dwordx4 a[68:71], v53, s[92:95], 0 offen       // 00000000662C: E05C1000 80974435
	buffer_load_dword v24, v12, s[28:31], 0 offen              // 000000006634: E0501000 8007180C
	buffer_load_dword v33, v19, s[32:35], 0 offen              // 00000000663C: E0501000 80082113
	buffer_load_dword v34, v20, s[32:35], 0 offen              // 000000006644: E0501000 80082214
	buffer_load_dword v35, v21, s[32:35], 0 offen              // 00000000664C: E0501000 80082315
	buffer_load_dword v36, v22, s[32:35], 0 offen              // 000000006654: E0501000 80082416
	v_mfma_scale_f32_16x16x128_f8f6f4 v[100:103], a[4:7], v[200:203], v[100:103], v25, v23 op_sel_hi:[0,0,0] cbsz:4 blgp:4// 00000000665C: D3AC7800 00022F19 D3AD0C64 8D939104
	s_waitcnt vmcnt(20)                                        // 00000000666C: BF8C4F74
	v_mfma_scale_f32_16x16x128_f8f6f4 v[72:75], a[8:11], v[192:195], v[72:75], v26, v23 op_sel_hi:[0,0,0] cbsz:4 blgp:4// 000000006670: D3AC6000 00022F1A D3AD0C48 8D238108
	buffer_load_dwordx4 a[72:75], v54, s[92:95], 0 offen       // 000000006680: E05C1000 80974836
	v_mfma_scale_f32_16x16x128_f8f6f4 v[104:107], a[8:11], v[200:203], v[104:107], v26, v23 op_sel_hi:[0,0,0] cbsz:4 blgp:4// 000000006688: D3AC7000 00022F1A D3AD0C68 8DA39108
	v_mfma_scale_f32_16x16x128_f8f6f4 v[76:79], a[12:15], v[192:195], v[76:79], v26, v23 op_sel_hi:[0,0,0] cbsz:4 blgp:4// 000000006698: D3AC6800 00022F1A D3AD0C4C 8D33810C
	buffer_load_dwordx4 a[76:79], v55, s[92:95], 0 offen       // 0000000066A8: E05C1000 80974C37
	v_mfma_scale_f32_16x16x128_f8f6f4 v[108:111], a[12:15], v[200:203], v[108:111], v26, v23 op_sel_hi:[0,0,0] cbsz:4 blgp:4// 0000000066B0: D3AC7800 00022F1A D3AD0C6C 8DB3910C
	s_waitcnt vmcnt(20)                                        // 0000000066C0: BF8C4F74
	v_mfma_scale_f32_16x16x128_f8f6f4 v[80:83], a[16:19], v[192:195], v[80:83], v27, v23 op_sel_hi:[0,0,0] cbsz:4 blgp:4// 0000000066C4: D3AC6000 00022F1B D3AD0C50 8D438110
	buffer_load_dwordx4 a[80:83], v56, s[92:95], 0 offen       // 0000000066D4: E05C1000 80975038
	v_mfma_scale_f32_16x16x128_f8f6f4 v[112:115], a[16:19], v[200:203], v[112:115], v27, v23 op_sel_hi:[0,0,0] cbsz:4 blgp:4// 0000000066DC: D3AC7000 00022F1B D3AD0C70 8DC39110
	v_mfma_scale_f32_16x16x128_f8f6f4 v[84:87], a[20:23], v[192:195], v[84:87], v27, v23 op_sel_hi:[0,0,0] cbsz:4 blgp:4// 0000000066EC: D3AC6800 00022F1B D3AD0C54 8D538114
	buffer_load_dwordx4 a[84:87], v57, s[92:95], 0 offen       // 0000000066FC: E05C1000 80975439
	v_mfma_scale_f32_16x16x128_f8f6f4 v[116:119], a[20:23], v[200:203], v[116:119], v27, v23 op_sel_hi:[0,0,0] cbsz:4 blgp:4// 000000006704: D3AC7800 00022F1B D3AD0C74 8DD39114
	s_waitcnt vmcnt(20)                                        // 000000006714: BF8C4F74
	v_mfma_scale_f32_16x16x128_f8f6f4 v[88:91], a[24:27], v[192:195], v[88:91], v28, v23 op_sel_hi:[0,0,0] cbsz:4 blgp:4// 000000006718: D3AC6000 00022F1C D3AD0C58 8D638118
	buffer_load_dwordx4 a[88:91], v58, s[92:95], 0 offen       // 000000006728: E05C1000 8097583A
	v_mfma_scale_f32_16x16x128_f8f6f4 v[120:123], a[24:27], v[200:203], v[120:123], v28, v23 op_sel_hi:[0,0,0] cbsz:4 blgp:4// 000000006730: D3AC7000 00022F1C D3AD0C78 8DE39118
	v_mfma_scale_f32_16x16x128_f8f6f4 v[92:95], a[28:31], v[192:195], v[92:95], v28, v23 op_sel_hi:[0,0,0] cbsz:4 blgp:4// 000000006740: D3AC6800 00022F1C D3AD0C5C 8D73811C
	buffer_load_dwordx4 a[92:95], v59, s[92:95], 0 offen       // 000000006750: E05C1000 80975C3B
	v_mfma_scale_f32_16x16x128_f8f6f4 v[124:127], a[28:31], v[200:203], v[124:127], v28, v23 op_sel_hi:[0,0,0] cbsz:4 blgp:4// 000000006758: D3AC7800 00022F1C D3AD0C7C 8DF3911C
	s_nop 0                                                    // 000000006768: BF800000
	s_waitcnt vmcnt(20)                                        // 00000000676C: BF8C4F74
	v_mfma_scale_f32_16x16x128_f8f6f4 v[64:67], a[32:35], v[196:199], v[64:67], v25, v23 op_sel_hi:[0,0,0] cbsz:4 blgp:4// 000000006770: D3AC6000 18022F19 D3AD0C40 8D038920
	buffer_load_dwordx4 a[96:99], v52, s[92:95], 0 offen offset:1024// 000000006780: E05C1400 80976034
	v_mfma_scale_f32_16x16x128_f8f6f4 v[96:99], a[32:35], v[204:207], v[96:99], v25, v23 op_sel_hi:[0,0,0] cbsz:4 blgp:4// 000000006788: D3AC7000 18022F19 D3AD0C60 8D839920
	v_mfma_scale_f32_16x16x128_f8f6f4 v[68:71], a[36:39], v[196:199], v[68:71], v25, v23 op_sel_hi:[0,0,0] cbsz:4 blgp:4// 000000006798: D3AC6800 18022F19 D3AD0C44 8D138924
	buffer_load_dwordx4 a[100:103], v53, s[92:95], 0 offen offset:1024// 0000000067A8: E05C1400 80976435
	v_mfma_scale_f32_16x16x128_f8f6f4 v[100:103], a[36:39], v[204:207], v[100:103], v25, v23 op_sel_hi:[0,0,0] cbsz:4 blgp:4// 0000000067B0: D3AC7800 18022F19 D3AD0C64 8D939924
	s_waitcnt vmcnt(20)                                        // 0000000067C0: BF8C4F74
	v_mfma_scale_f32_16x16x128_f8f6f4 v[72:75], a[40:43], v[196:199], v[72:75], v26, v23 op_sel_hi:[0,0,0] cbsz:4 blgp:4// 0000000067C4: D3AC6000 18022F1A D3AD0C48 8D238928
	buffer_load_dwordx4 a[104:107], v54, s[92:95], 0 offen offset:1024// 0000000067D4: E05C1400 80976836
	v_mfma_scale_f32_16x16x128_f8f6f4 v[104:107], a[40:43], v[204:207], v[104:107], v26, v23 op_sel_hi:[0,0,0] cbsz:4 blgp:4// 0000000067DC: D3AC7000 18022F1A D3AD0C68 8DA39928
	v_mfma_scale_f32_16x16x128_f8f6f4 v[76:79], a[44:47], v[196:199], v[76:79], v26, v23 op_sel_hi:[0,0,0] cbsz:4 blgp:4// 0000000067EC: D3AC6800 18022F1A D3AD0C4C 8D33892C
	buffer_load_dwordx4 a[108:111], v55, s[92:95], 0 offen offset:1024// 0000000067FC: E05C1400 80976C37
	v_mfma_scale_f32_16x16x128_f8f6f4 v[108:111], a[44:47], v[204:207], v[108:111], v26, v23 op_sel_hi:[0,0,0] cbsz:4 blgp:4// 000000006804: D3AC7800 18022F1A D3AD0C6C 8DB3992C
	s_waitcnt vmcnt(20)                                        // 000000006814: BF8C4F74
	v_mfma_scale_f32_16x16x128_f8f6f4 v[80:83], a[48:51], v[196:199], v[80:83], v27, v23 op_sel_hi:[0,0,0] cbsz:4 blgp:4// 000000006818: D3AC6000 18022F1B D3AD0C50 8D438930
	buffer_load_dwordx4 a[112:115], v56, s[92:95], 0 offen offset:1024// 000000006828: E05C1400 80977038
	v_mfma_scale_f32_16x16x128_f8f6f4 v[112:115], a[48:51], v[204:207], v[112:115], v27, v23 op_sel_hi:[0,0,0] cbsz:4 blgp:4// 000000006830: D3AC7000 18022F1B D3AD0C70 8DC39930
	v_mfma_scale_f32_16x16x128_f8f6f4 v[84:87], a[52:55], v[196:199], v[84:87], v27, v23 op_sel_hi:[0,0,0] cbsz:4 blgp:4// 000000006840: D3AC6800 18022F1B D3AD0C54 8D538934
	buffer_load_dwordx4 a[116:119], v57, s[92:95], 0 offen offset:1024// 000000006850: E05C1400 80977439
	v_mfma_scale_f32_16x16x128_f8f6f4 v[116:119], a[52:55], v[204:207], v[116:119], v27, v23 op_sel_hi:[0,0,0] cbsz:4 blgp:4// 000000006858: D3AC7800 18022F1B D3AD0C74 8DD39934
	s_waitcnt vmcnt(20)                                        // 000000006868: BF8C4F74
	v_mfma_scale_f32_16x16x128_f8f6f4 v[88:91], a[56:59], v[196:199], v[88:91], v28, v23 op_sel_hi:[0,0,0] cbsz:4 blgp:4// 00000000686C: D3AC6000 18022F1C D3AD0C58 8D638938
	buffer_load_dwordx4 a[120:123], v58, s[92:95], 0 offen offset:1024// 00000000687C: E05C1400 8097783A
	v_mfma_scale_f32_16x16x128_f8f6f4 v[120:123], a[56:59], v[204:207], v[120:123], v28, v23 op_sel_hi:[0,0,0] cbsz:4 blgp:4// 000000006884: D3AC7000 18022F1C D3AD0C78 8DE39938
	v_mfma_scale_f32_16x16x128_f8f6f4 v[92:95], a[60:63], v[196:199], v[92:95], v28, v23 op_sel_hi:[0,0,0] cbsz:4 blgp:4// 000000006894: D3AC6800 18022F1C D3AD0C5C 8D73893C
	buffer_load_dwordx4 a[124:127], v59, s[92:95], 0 offen offset:1024// 0000000068A4: E05C1400 80977C3B
	v_mfma_scale_f32_16x16x128_f8f6f4 v[124:127], a[60:63], v[204:207], v[124:127], v28, v23 op_sel_hi:[0,0,0] cbsz:4 blgp:4// 0000000068AC: D3AC7800 18022F1C D3AD0C7C 8DF3993C
	s_add_u32 s60, 0x100, s80                                  // 0000000068BC: 803C50FF 00000100
	s_cmp_lt_u32 s60, s81                                      // 0000000068C4: BF0A513C
	s_cselect_b32 s4, s4, 0                                    // 0000000068C8: 85048004
	s_add_u32 s32, s4, s32                                     // 0000000068CC: 80202004
	s_addc_u32 s33, 0, s33                                     // 0000000068D0: 82212180
	s_waitcnt vmcnt(14)                                        // 0000000068D4: BF8C0F7E
	s_barrier                                                  // 0000000068D8: BF8A0000
	v_mfma_scale_f32_16x16x128_f8f6f4 v[128:131], a[64:67], v[192:195], v[128:131], v33, v23 op_sel_hi:[0,0,0] cbsz:4 blgp:4// 0000000068DC: D3AC6000 00022F21 D3AD0C80 8E038140
	buffer_load_dwordx4 a[0:3], v52, s[24:27], 0 offen         // 0000000068EC: E05C1000 80860034
	buffer_load_dword v29, v15, s[32:35], 0 offen              // 0000000068F4: E0501000 80081D0F
	buffer_load_dword v30, v16, s[32:35], 0 offen              // 0000000068FC: E0501000 80081E10
	v_mfma_scale_f32_16x16x128_f8f6f4 v[160:163], a[64:67], v[200:203], v[160:163], v33, v23 op_sel_hi:[0,0,0] cbsz:4 blgp:4// 000000006904: D3AC7000 00022F21 D3AD0CA0 8E839140
	v_mfma_scale_f32_16x16x128_f8f6f4 v[132:135], a[68:71], v[192:195], v[132:135], v33, v23 op_sel_hi:[0,0,0] cbsz:4 blgp:4// 000000006914: D3AC6800 00022F21 D3AD0C84 8E138144
	buffer_load_dwordx4 a[4:7], v53, s[24:27], 0 offen         // 000000006924: E05C1000 80860435
	buffer_load_dword v31, v17, s[32:35], 0 offen              // 00000000692C: E0501000 80081F11
	buffer_load_dword v32, v18, s[32:35], 0 offen              // 000000006934: E0501000 80082012
	v_mfma_scale_f32_16x16x128_f8f6f4 v[164:167], a[68:71], v[200:203], v[164:167], v33, v23 op_sel_hi:[0,0,0] cbsz:4 blgp:4// 00000000693C: D3AC1800 00022F21 D3AD0CA4 8E939144
	s_waitcnt vmcnt(18)                                        // 00000000694C: BF8C4F72
	v_mfma_scale_f32_16x16x128_f8f6f4 v[136:139], a[72:75], v[192:195], v[136:139], v34, v23 op_sel_hi:[0,0,0] cbsz:4 blgp:4// 000000006950: D3AC6000 00022F22 D3AD0C88 8E238148
	buffer_load_dwordx4 a[8:11], v54, s[24:27], 0 offen        // 000000006960: E05C1000 80860836
	v_mfma_scale_f32_16x16x128_f8f6f4 v[168:171], a[72:75], v[200:203], v[168:171], v34, v23 op_sel_hi:[0,0,0] cbsz:4 blgp:4// 000000006968: D3AC7000 00022F22 D3AD0CA8 8EA39148
	v_mfma_scale_f32_16x16x128_f8f6f4 v[140:143], a[76:79], v[192:195], v[140:143], v34, v23 op_sel_hi:[0,0,0] cbsz:4 blgp:4// 000000006978: D3AC6800 00022F22 D3AD0C8C 8E33814C
	buffer_load_dwordx4 a[12:15], v55, s[24:27], 0 offen       // 000000006988: E05C1000 80860C37
	v_mfma_scale_f32_16x16x128_f8f6f4 v[172:175], a[76:79], v[200:203], v[172:175], v34, v23 op_sel_hi:[0,0,0] cbsz:4 blgp:4// 000000006990: D3AC7800 00022F22 D3AD0CAC 8EB3914C
	s_waitcnt vmcnt(18)                                        // 0000000069A0: BF8C4F72
	v_mfma_scale_f32_16x16x128_f8f6f4 v[144:147], a[80:83], v[192:195], v[144:147], v35, v23 op_sel_hi:[0,0,0] cbsz:4 blgp:4// 0000000069A4: D3AC6000 00022F23 D3AD0C90 8E438150
	buffer_load_dwordx4 a[16:19], v56, s[24:27], 0 offen       // 0000000069B4: E05C1000 80861038
	v_mfma_scale_f32_16x16x128_f8f6f4 v[176:179], a[80:83], v[200:203], v[176:179], v35, v23 op_sel_hi:[0,0,0] cbsz:4 blgp:4// 0000000069BC: D3AC7000 00022F23 D3AD0CB0 8EC39150
	v_mfma_scale_f32_16x16x128_f8f6f4 v[148:151], a[84:87], v[192:195], v[148:151], v35, v23 op_sel_hi:[0,0,0] cbsz:4 blgp:4// 0000000069CC: D3AC6800 00022F23 D3AD0C94 8E538154
	buffer_load_dwordx4 a[20:23], v57, s[24:27], 0 offen       // 0000000069DC: E05C1000 80861439
	v_mfma_scale_f32_16x16x128_f8f6f4 v[180:183], a[84:87], v[200:203], v[180:183], v35, v23 op_sel_hi:[0,0,0] cbsz:4 blgp:4// 0000000069E4: D3AC7800 00022F23 D3AD0CB4 8ED39154
	s_waitcnt vmcnt(18)                                        // 0000000069F4: BF8C4F72
	v_mfma_scale_f32_16x16x128_f8f6f4 v[152:155], a[88:91], v[192:195], v[152:155], v36, v23 op_sel_hi:[0,0,0] cbsz:4 blgp:4// 0000000069F8: D3AC6000 00022F24 D3AD0C98 8E638158
	buffer_load_dwordx4 a[24:27], v58, s[24:27], 0 offen       // 000000006A08: E05C1000 8086183A
	v_mfma_scale_f32_16x16x128_f8f6f4 v[184:187], a[88:91], v[200:203], v[184:187], v36, v23 op_sel_hi:[0,0,0] cbsz:4 blgp:4// 000000006A10: D3AC7000 00022F24 D3AD0CB8 8EE39158
	v_mfma_scale_f32_16x16x128_f8f6f4 v[156:159], a[92:95], v[192:195], v[156:159], v36, v23 op_sel_hi:[0,0,0] cbsz:4 blgp:4// 000000006A20: D3AC6800 00022F24 D3AD0C9C 8E73815C
	buffer_load_dwordx4 a[28:31], v59, s[24:27], 0 offen       // 000000006A30: E05C1000 80861C3B
	v_mfma_scale_f32_16x16x128_f8f6f4 v[188:191], a[92:95], v[200:203], v[188:191], v36, v23 op_sel_hi:[0,0,0] cbsz:4 blgp:4// 000000006A38: D3AC7800 00022F24 D3AD0CBC 8EF3915C
	s_waitcnt vmcnt(18)                                        // 000000006A48: BF8C4F72
	v_mfma_scale_f32_16x16x128_f8f6f4 v[128:131], a[96:99], v[196:199], v[128:131], v33, v23 op_sel_hi:[0,0,0] cbsz:4 blgp:4// 000000006A4C: D3AC6000 18022F21 D3AD0C80 8E038960
	buffer_load_dwordx4 a[32:35], v52, s[24:27], 0 offen offset:1024// 000000006A5C: E05C1400 80862034
	v_mfma_scale_f32_16x16x128_f8f6f4 v[160:163], a[96:99], v[204:207], v[160:163], v33, v23 op_sel_hi:[0,0,0] cbsz:4 blgp:4// 000000006A64: D3AC7000 18022F21 D3AD0CA0 8E839960
	ds_read_b128 v[208:211], v6 offset:4224                    // 000000006A74: D9FE1080 D0000006
	ds_read_b128 v[212:215], v6 offset:4288                    // 000000006A7C: D9FE10C0 D4000006
	v_mfma_scale_f32_16x16x128_f8f6f4 v[132:135], a[100:103], v[196:199], v[132:135], v33, v23 op_sel_hi:[0,0,0] cbsz:4 blgp:4// 000000006A84: D3AC6800 18022F21 D3AD0C84 8E138964
	buffer_load_dwordx4 a[36:39], v53, s[24:27], 0 offen offset:1024// 000000006A94: E05C1400 80862435
	v_mfma_scale_f32_16x16x128_f8f6f4 v[164:167], a[100:103], v[204:207], v[164:167], v33, v23 op_sel_hi:[0,0,0] cbsz:4 blgp:4// 000000006A9C: D3AC7800 18022F21 D3AD0CA4 8E939964
	ds_read_b128 v[216:219], v6 offset:4736                    // 000000006AAC: D9FE1280 D8000006
	ds_read_b128 v[220:223], v6 offset:4800                    // 000000006AB4: D9FE12C0 DC000006
	s_waitcnt vmcnt(18)                                        // 000000006ABC: BF8C4F72
	v_mfma_scale_f32_16x16x128_f8f6f4 v[136:139], a[104:107], v[196:199], v[136:139], v34, v23 op_sel_hi:[0,0,0] cbsz:4 blgp:4// 000000006AC0: D3AC6000 18022F22 D3AD0C88 8E238968
	buffer_load_dwordx4 a[40:43], v54, s[24:27], 0 offen offset:1024// 000000006AD0: E05C1400 80862836
	v_mfma_scale_f32_16x16x128_f8f6f4 v[168:171], a[104:107], v[204:207], v[168:171], v34, v23 op_sel_hi:[0,0,0] cbsz:4 blgp:4// 000000006AD8: D3AC7000 18022F22 D3AD0CA8 8EA39968
	v_mfma_scale_f32_16x16x128_f8f6f4 v[140:143], a[108:111], v[196:199], v[140:143], v34, v23 op_sel_hi:[0,0,0] cbsz:4 blgp:4// 000000006AE8: D3AC6800 18022F22 D3AD0C8C 8E33896C
	buffer_load_dwordx4 a[44:47], v55, s[24:27], 0 offen offset:1024// 000000006AF8: E05C1400 80862C37
	v_mfma_scale_f32_16x16x128_f8f6f4 v[172:175], a[108:111], v[204:207], v[172:175], v34, v23 op_sel_hi:[0,0,0] cbsz:4 blgp:4// 000000006B00: D3AC7800 18022F22 D3AD0CAC 8EB3996C
	s_waitcnt vmcnt(18)                                        // 000000006B10: BF8C4F72
	v_mfma_scale_f32_16x16x128_f8f6f4 v[144:147], a[112:115], v[196:199], v[144:147], v35, v23 op_sel_hi:[0,0,0] cbsz:4 blgp:4// 000000006B14: D3AC6000 18022F23 D3AD0C90 8E438970
	buffer_load_dwordx4 a[48:51], v56, s[24:27], 0 offen offset:1024// 000000006B24: E05C1400 80863038
	v_mfma_scale_f32_16x16x128_f8f6f4 v[176:179], a[112:115], v[204:207], v[176:179], v35, v23 op_sel_hi:[0,0,0] cbsz:4 blgp:4// 000000006B2C: D3AC7000 18022F23 D3AD0CB0 8EC39970
	v_mfma_scale_f32_16x16x128_f8f6f4 v[148:151], a[116:119], v[196:199], v[148:151], v35, v23 op_sel_hi:[0,0,0] cbsz:4 blgp:4// 000000006B3C: D3AC6800 18022F23 D3AD0C94 8E538974
	buffer_load_dwordx4 a[52:55], v57, s[24:27], 0 offen offset:1024// 000000006B4C: E05C1400 80863439
	v_mfma_scale_f32_16x16x128_f8f6f4 v[180:183], a[116:119], v[204:207], v[180:183], v35, v23 op_sel_hi:[0,0,0] cbsz:4 blgp:4// 000000006B54: D3AC7800 18022F23 D3AD0CB4 8ED39974
	s_waitcnt vmcnt(18)                                        // 000000006B64: BF8C4F72
	v_mfma_scale_f32_16x16x128_f8f6f4 v[152:155], a[120:123], v[196:199], v[152:155], v36, v23 op_sel_hi:[0,0,0] cbsz:4 blgp:4// 000000006B68: D3AC6000 18022F24 D3AD0C98 8E638978
	buffer_load_dwordx4 a[56:59], v58, s[24:27], 0 offen offset:1024// 000000006B78: E05C1400 8086383A
	v_mfma_scale_f32_16x16x128_f8f6f4 v[184:187], a[120:123], v[204:207], v[184:187], v36, v23 op_sel_hi:[0,0,0] cbsz:4 blgp:4// 000000006B80: D3AC7000 18022F24 D3AD0CB8 8EE39978
	v_mfma_scale_f32_16x16x128_f8f6f4 v[156:159], a[124:127], v[196:199], v[156:159], v36, v23 op_sel_hi:[0,0,0] cbsz:4 blgp:4// 000000006B90: D3AC6800 18022F24 D3AD0C9C 8E73897C
	buffer_load_dwordx4 a[60:63], v59, s[24:27], 0 offen offset:1024// 000000006BA0: E05C1400 80863C3B
	v_mfma_scale_f32_16x16x128_f8f6f4 v[188:191], a[124:127], v[204:207], v[188:191], v36, v23 op_sel_hi:[0,0,0] cbsz:4 blgp:4// 000000006BA8: D3AC7800 18022F24 D3AD0CBC 8EF3997C
	s_add_u32 s60, 0x200, s80                                  // 000000006BB8: 803C50FF 00000200
	s_cmp_lt_u32 s60, s81                                      // 000000006BC0: BF0A513C
	s_cselect_b32 s57, s57, 0                                  // 000000006BC4: 85398039
	s_cselect_b32 s3, s3, 0                                    // 000000006BC8: 85038003
	s_add_u32 s60, 0x200, s80                                  // 000000006BCC: 803C50FF 00000200
	s_cmp_lt_u32 s60, s81                                      // 000000006BD4: BF0A513C
	s_cselect_b32 s58, s58, 0                                  // 000000006BD8: 853A803A
	s_add_u32 s20, s57, s20                                    // 000000006BDC: 80141439
	s_addc_u32 s21, 0, s21                                     // 000000006BE0: 82151580
	s_add_u32 s28, s3, s28                                     // 000000006BE4: 801C1C03
	s_addc_u32 s29, 0, s29                                     // 000000006BE8: 821D1D80
	s_add_u32 s24, s58, s24                                    // 000000006BEC: 8018183A
	s_addc_u32 s25, 0, s25                                     // 000000006BF0: 82191980
	s_add_u32 s92, s90, s92                                    // 000000006BF4: 805C5C5A
	s_addc_u32 s93, 0, s93                                     // 000000006BF8: 825D5D80
	s_addk_i32 s80, 0x100                                      // 000000006BFC: B7500100
	s_cmp_lt_i32 s80, s81                                      // 000000006C00: BF045150
	s_cbranch_scc0 label_110D                                  // 000000006C04: BF84018B
	s_waitcnt vmcnt(14) lgkmcnt(0)                             // 000000006C08: BF8C007E
	s_barrier                                                  // 000000006C0C: BF8A0000
	v_mfma_scale_f32_16x16x128_f8f6f4 v[64:67], a[0:3], v[208:211], v[64:67], v29, v24 op_sel_hi:[0,0,0] cbsz:4 blgp:4// 000000006C10: D3AC6000 0002311D D3AD0C40 8D03A100
	buffer_load_dwordx4 a[64:67], v52, s[92:95], 0 offen       // 000000006C20: E05C1000 80974034
	buffer_load_dwordx4 v51, s[20:23], 0 offen lds             // 000000006C28: E05D1000 80050033
	s_add_u32 m0, 0, s51                                       // 000000006C30: 807C3380
	v_mfma_scale_f32_16x16x128_f8f6f4 v[96:99], a[0:3], v[216:219], v[96:99], v29, v24 op_sel_hi:[0,0,0] cbsz:4 blgp:4// 000000006C34: D3AC7000 0002311D D3AD0C60 8D83B100
	v_mfma_scale_f32_16x16x128_f8f6f4 v[68:71], a[4:7], v[208:211], v[68:71], v29, v24 op_sel_hi:[0,0,0] cbsz:4 blgp:4// 000000006C44: D3AC6800 0002311D D3AD0C44 8D13A104
	buffer_load_dwordx4 a[68:71], v53, s[92:95], 0 offen       // 000000006C54: E05C1000 80974435
	buffer_load_dword v23, v12, s[28:31], 0 offen              // 000000006C5C: E0501000 8007170C
	buffer_load_dword v37, v19, s[32:35], 0 offen              // 000000006C64: E0501000 80082513
	buffer_load_dword v38, v20, s[32:35], 0 offen              // 000000006C6C: E0501000 80082614
	buffer_load_dword v39, v21, s[32:35], 0 offen              // 000000006C74: E0501000 80082715
	buffer_load_dword v40, v22, s[32:35], 0 offen              // 000000006C7C: E0501000 80082816
	v_mfma_scale_f32_16x16x128_f8f6f4 v[100:103], a[4:7], v[216:219], v[100:103], v29, v24 op_sel_hi:[0,0,0] cbsz:4 blgp:4// 000000006C84: D3AC7800 0002311D D3AD0C64 8D93B104
	s_waitcnt vmcnt(20)                                        // 000000006C94: BF8C4F74
	v_mfma_scale_f32_16x16x128_f8f6f4 v[72:75], a[8:11], v[208:211], v[72:75], v30, v24 op_sel_hi:[0,0,0] cbsz:4 blgp:4// 000000006C98: D3AC6000 0002311E D3AD0C48 8D23A108
	buffer_load_dwordx4 a[72:75], v54, s[92:95], 0 offen       // 000000006CA8: E05C1000 80974836
	v_mfma_scale_f32_16x16x128_f8f6f4 v[104:107], a[8:11], v[216:219], v[104:107], v30, v24 op_sel_hi:[0,0,0] cbsz:4 blgp:4// 000000006CB0: D3AC7000 0002311E D3AD0C68 8DA3B108
	v_mfma_scale_f32_16x16x128_f8f6f4 v[76:79], a[12:15], v[208:211], v[76:79], v30, v24 op_sel_hi:[0,0,0] cbsz:4 blgp:4// 000000006CC0: D3AC6800 0002311E D3AD0C4C 8D33A10C
	buffer_load_dwordx4 a[76:79], v55, s[92:95], 0 offen       // 000000006CD0: E05C1000 80974C37
	v_mfma_scale_f32_16x16x128_f8f6f4 v[108:111], a[12:15], v[216:219], v[108:111], v30, v24 op_sel_hi:[0,0,0] cbsz:4 blgp:4// 000000006CD8: D3AC7800 0002311E D3AD0C6C 8DB3B10C
	s_waitcnt vmcnt(20)                                        // 000000006CE8: BF8C4F74
	v_mfma_scale_f32_16x16x128_f8f6f4 v[80:83], a[16:19], v[208:211], v[80:83], v31, v24 op_sel_hi:[0,0,0] cbsz:4 blgp:4// 000000006CEC: D3AC6000 0002311F D3AD0C50 8D43A110
	buffer_load_dwordx4 a[80:83], v56, s[92:95], 0 offen       // 000000006CFC: E05C1000 80975038
	v_mfma_scale_f32_16x16x128_f8f6f4 v[112:115], a[16:19], v[216:219], v[112:115], v31, v24 op_sel_hi:[0,0,0] cbsz:4 blgp:4// 000000006D04: D3AC7000 0002311F D3AD0C70 8DC3B110
	v_mfma_scale_f32_16x16x128_f8f6f4 v[84:87], a[20:23], v[208:211], v[84:87], v31, v24 op_sel_hi:[0,0,0] cbsz:4 blgp:4// 000000006D14: D3AC6800 0002311F D3AD0C54 8D53A114
	buffer_load_dwordx4 a[84:87], v57, s[92:95], 0 offen       // 000000006D24: E05C1000 80975439
	v_mfma_scale_f32_16x16x128_f8f6f4 v[116:119], a[20:23], v[216:219], v[116:119], v31, v24 op_sel_hi:[0,0,0] cbsz:4 blgp:4// 000000006D2C: D3AC7800 0002311F D3AD0C74 8DD3B114
	s_waitcnt vmcnt(20)                                        // 000000006D3C: BF8C4F74
	v_mfma_scale_f32_16x16x128_f8f6f4 v[88:91], a[24:27], v[208:211], v[88:91], v32, v24 op_sel_hi:[0,0,0] cbsz:4 blgp:4// 000000006D40: D3AC6000 00023120 D3AD0C58 8D63A118
	buffer_load_dwordx4 a[88:91], v58, s[92:95], 0 offen       // 000000006D50: E05C1000 8097583A
	v_mfma_scale_f32_16x16x128_f8f6f4 v[120:123], a[24:27], v[216:219], v[120:123], v32, v24 op_sel_hi:[0,0,0] cbsz:4 blgp:4// 000000006D58: D3AC7000 00023120 D3AD0C78 8DE3B118
	v_mfma_scale_f32_16x16x128_f8f6f4 v[92:95], a[28:31], v[208:211], v[92:95], v32, v24 op_sel_hi:[0,0,0] cbsz:4 blgp:4// 000000006D68: D3AC6800 00023120 D3AD0C5C 8D73A11C
	buffer_load_dwordx4 a[92:95], v59, s[92:95], 0 offen       // 000000006D78: E05C1000 80975C3B
	v_mfma_scale_f32_16x16x128_f8f6f4 v[124:127], a[28:31], v[216:219], v[124:127], v32, v24 op_sel_hi:[0,0,0] cbsz:4 blgp:4// 000000006D80: D3AC7800 00023120 D3AD0C7C 8DF3B11C
	s_nop 0                                                    // 000000006D90: BF800000
	s_waitcnt vmcnt(20)                                        // 000000006D94: BF8C4F74
	v_mfma_scale_f32_16x16x128_f8f6f4 v[64:67], a[32:35], v[212:215], v[64:67], v29, v24 op_sel_hi:[0,0,0] cbsz:4 blgp:4// 000000006D98: D3AC6000 1802311D D3AD0C40 8D03A920
	buffer_load_dwordx4 a[96:99], v52, s[92:95], 0 offen offset:1024// 000000006DA8: E05C1400 80976034
	v_mfma_scale_f32_16x16x128_f8f6f4 v[96:99], a[32:35], v[220:223], v[96:99], v29, v24 op_sel_hi:[0,0,0] cbsz:4 blgp:4// 000000006DB0: D3AC7000 1802311D D3AD0C60 8D83B920
	v_mfma_scale_f32_16x16x128_f8f6f4 v[68:71], a[36:39], v[212:215], v[68:71], v29, v24 op_sel_hi:[0,0,0] cbsz:4 blgp:4// 000000006DC0: D3AC6800 1802311D D3AD0C44 8D13A924
	buffer_load_dwordx4 a[100:103], v53, s[92:95], 0 offen offset:1024// 000000006DD0: E05C1400 80976435
	v_mfma_scale_f32_16x16x128_f8f6f4 v[100:103], a[36:39], v[220:223], v[100:103], v29, v24 op_sel_hi:[0,0,0] cbsz:4 blgp:4// 000000006DD8: D3AC7800 1802311D D3AD0C64 8D93B924
	s_waitcnt vmcnt(20)                                        // 000000006DE8: BF8C4F74
	v_mfma_scale_f32_16x16x128_f8f6f4 v[72:75], a[40:43], v[212:215], v[72:75], v30, v24 op_sel_hi:[0,0,0] cbsz:4 blgp:4// 000000006DEC: D3AC6000 1802311E D3AD0C48 8D23A928
	buffer_load_dwordx4 a[104:107], v54, s[92:95], 0 offen offset:1024// 000000006DFC: E05C1400 80976836
	v_mfma_scale_f32_16x16x128_f8f6f4 v[104:107], a[40:43], v[220:223], v[104:107], v30, v24 op_sel_hi:[0,0,0] cbsz:4 blgp:4// 000000006E04: D3AC7000 1802311E D3AD0C68 8DA3B928
	v_mfma_scale_f32_16x16x128_f8f6f4 v[76:79], a[44:47], v[212:215], v[76:79], v30, v24 op_sel_hi:[0,0,0] cbsz:4 blgp:4// 000000006E14: D3AC6800 1802311E D3AD0C4C 8D33A92C
	buffer_load_dwordx4 a[108:111], v55, s[92:95], 0 offen offset:1024// 000000006E24: E05C1400 80976C37
	v_mfma_scale_f32_16x16x128_f8f6f4 v[108:111], a[44:47], v[220:223], v[108:111], v30, v24 op_sel_hi:[0,0,0] cbsz:4 blgp:4// 000000006E2C: D3AC7800 1802311E D3AD0C6C 8DB3B92C
	s_waitcnt vmcnt(20)                                        // 000000006E3C: BF8C4F74
	v_mfma_scale_f32_16x16x128_f8f6f4 v[80:83], a[48:51], v[212:215], v[80:83], v31, v24 op_sel_hi:[0,0,0] cbsz:4 blgp:4// 000000006E40: D3AC6000 1802311F D3AD0C50 8D43A930
	buffer_load_dwordx4 a[112:115], v56, s[92:95], 0 offen offset:1024// 000000006E50: E05C1400 80977038
	v_mfma_scale_f32_16x16x128_f8f6f4 v[112:115], a[48:51], v[220:223], v[112:115], v31, v24 op_sel_hi:[0,0,0] cbsz:4 blgp:4// 000000006E58: D3AC7000 1802311F D3AD0C70 8DC3B930
	v_mfma_scale_f32_16x16x128_f8f6f4 v[84:87], a[52:55], v[212:215], v[84:87], v31, v24 op_sel_hi:[0,0,0] cbsz:4 blgp:4// 000000006E68: D3AC6800 1802311F D3AD0C54 8D53A934
	buffer_load_dwordx4 a[116:119], v57, s[92:95], 0 offen offset:1024// 000000006E78: E05C1400 80977439
	v_mfma_scale_f32_16x16x128_f8f6f4 v[116:119], a[52:55], v[220:223], v[116:119], v31, v24 op_sel_hi:[0,0,0] cbsz:4 blgp:4// 000000006E80: D3AC7800 1802311F D3AD0C74 8DD3B934
	s_waitcnt vmcnt(20)                                        // 000000006E90: BF8C4F74
	v_mfma_scale_f32_16x16x128_f8f6f4 v[88:91], a[56:59], v[212:215], v[88:91], v32, v24 op_sel_hi:[0,0,0] cbsz:4 blgp:4// 000000006E94: D3AC6000 18023120 D3AD0C58 8D63A938
	buffer_load_dwordx4 a[120:123], v58, s[92:95], 0 offen offset:1024// 000000006EA4: E05C1400 8097783A
	v_mfma_scale_f32_16x16x128_f8f6f4 v[120:123], a[56:59], v[220:223], v[120:123], v32, v24 op_sel_hi:[0,0,0] cbsz:4 blgp:4// 000000006EAC: D3AC7000 18023120 D3AD0C78 8DE3B938
	v_mfma_scale_f32_16x16x128_f8f6f4 v[92:95], a[60:63], v[212:215], v[92:95], v32, v24 op_sel_hi:[0,0,0] cbsz:4 blgp:4// 000000006EBC: D3AC6800 18023120 D3AD0C5C 8D73A93C
	buffer_load_dwordx4 a[124:127], v59, s[92:95], 0 offen offset:1024// 000000006ECC: E05C1400 80977C3B
	v_mfma_scale_f32_16x16x128_f8f6f4 v[124:127], a[60:63], v[220:223], v[124:127], v32, v24 op_sel_hi:[0,0,0] cbsz:4 blgp:4// 000000006ED4: D3AC7800 18023120 D3AD0C7C 8DF3B93C
	s_add_u32 s60, 0x100, s80                                  // 000000006EE4: 803C50FF 00000100
	s_cmp_lt_u32 s60, s81                                      // 000000006EEC: BF0A513C
	s_cselect_b32 s4, s4, 0                                    // 000000006EF0: 85048004
	s_add_u32 s32, s4, s32                                     // 000000006EF4: 80202004
	s_addc_u32 s33, 0, s33                                     // 000000006EF8: 82212180
	s_waitcnt vmcnt(14)                                        // 000000006EFC: BF8C0F7E
	s_barrier                                                  // 000000006F00: BF8A0000
	v_mfma_scale_f32_16x16x128_f8f6f4 v[128:131], a[64:67], v[208:211], v[128:131], v37, v24 op_sel_hi:[0,0,0] cbsz:4 blgp:4// 000000006F04: D3AC6000 00023125 D3AD0C80 8E03A140
	buffer_load_dwordx4 a[0:3], v52, s[24:27], 0 offen         // 000000006F14: E05C1000 80860034
	buffer_load_dword v25, v15, s[32:35], 0 offen              // 000000006F1C: E0501000 8008190F
	buffer_load_dword v26, v16, s[32:35], 0 offen              // 000000006F24: E0501000 80081A10
	v_mfma_scale_f32_16x16x128_f8f6f4 v[160:163], a[64:67], v[216:219], v[160:163], v37, v24 op_sel_hi:[0,0,0] cbsz:4 blgp:4// 000000006F2C: D3AC7000 00023125 D3AD0CA0 8E83B140
	v_mfma_scale_f32_16x16x128_f8f6f4 v[132:135], a[68:71], v[208:211], v[132:135], v37, v24 op_sel_hi:[0,0,0] cbsz:4 blgp:4// 000000006F3C: D3AC6800 00023125 D3AD0C84 8E13A144
	buffer_load_dwordx4 a[4:7], v53, s[24:27], 0 offen         // 000000006F4C: E05C1000 80860435
	buffer_load_dword v27, v17, s[32:35], 0 offen              // 000000006F54: E0501000 80081B11
	buffer_load_dword v28, v18, s[32:35], 0 offen              // 000000006F5C: E0501000 80081C12
	v_mfma_scale_f32_16x16x128_f8f6f4 v[164:167], a[68:71], v[216:219], v[164:167], v37, v24 op_sel_hi:[0,0,0] cbsz:4 blgp:4// 000000006F64: D3AC7800 00023125 D3AD0CA4 8E93B144
	s_waitcnt vmcnt(18)                                        // 000000006F74: BF8C4F72
	v_mfma_scale_f32_16x16x128_f8f6f4 v[136:139], a[72:75], v[208:211], v[136:139], v38, v24 op_sel_hi:[0,0,0] cbsz:4 blgp:4// 000000006F78: D3AC6000 00023126 D3AD0C88 8E23A148
	buffer_load_dwordx4 a[8:11], v54, s[24:27], 0 offen        // 000000006F88: E05C1000 80860836
	v_mfma_scale_f32_16x16x128_f8f6f4 v[168:171], a[72:75], v[216:219], v[168:171], v38, v24 op_sel_hi:[0,0,0] cbsz:4 blgp:4// 000000006F90: D3AC7000 00023126 D3AD0CA8 8EA3B148
	v_mfma_scale_f32_16x16x128_f8f6f4 v[140:143], a[76:79], v[208:211], v[140:143], v38, v24 op_sel_hi:[0,0,0] cbsz:4 blgp:4// 000000006FA0: D3AC6800 00023126 D3AD0C8C 8E33A14C
	buffer_load_dwordx4 a[12:15], v55, s[24:27], 0 offen       // 000000006FB0: E05C1000 80860C37
	v_mfma_scale_f32_16x16x128_f8f6f4 v[172:175], a[76:79], v[216:219], v[172:175], v38, v24 op_sel_hi:[0,0,0] cbsz:4 blgp:4// 000000006FB8: D3AC7800 00023126 D3AD0CAC 8EB3B14C
	s_waitcnt vmcnt(18)                                        // 000000006FC8: BF8C4F72
	v_mfma_scale_f32_16x16x128_f8f6f4 v[144:147], a[80:83], v[208:211], v[144:147], v39, v24 op_sel_hi:[0,0,0] cbsz:4 blgp:4// 000000006FCC: D3AC6000 00023127 D3AD0C90 8E43A150
	buffer_load_dwordx4 a[16:19], v56, s[24:27], 0 offen       // 000000006FDC: E05C1000 80861038
	v_mfma_scale_f32_16x16x128_f8f6f4 v[176:179], a[80:83], v[216:219], v[176:179], v39, v24 op_sel_hi:[0,0,0] cbsz:4 blgp:4// 000000006FE4: D3AC7000 00023127 D3AD0CB0 8EC3B150
	v_mfma_scale_f32_16x16x128_f8f6f4 v[148:151], a[84:87], v[208:211], v[148:151], v39, v24 op_sel_hi:[0,0,0] cbsz:4 blgp:4// 000000006FF4: D3AC6800 00023127 D3AD0C94 8E53A154
	buffer_load_dwordx4 a[20:23], v57, s[24:27], 0 offen       // 000000007004: E05C1000 80861439
	v_mfma_scale_f32_16x16x128_f8f6f4 v[180:183], a[84:87], v[216:219], v[180:183], v39, v24 op_sel_hi:[0,0,0] cbsz:4 blgp:4// 00000000700C: D3AC7800 00023127 D3AD0CB4 8ED3B154
	s_waitcnt vmcnt(18)                                        // 00000000701C: BF8C4F72
	v_mfma_scale_f32_16x16x128_f8f6f4 v[152:155], a[88:91], v[208:211], v[152:155], v40, v24 op_sel_hi:[0,0,0] cbsz:4 blgp:4// 000000007020: D3AC6000 00023128 D3AD0C98 8E63A158
	buffer_load_dwordx4 a[24:27], v58, s[24:27], 0 offen       // 000000007030: E05C1000 8086183A
	v_mfma_scale_f32_16x16x128_f8f6f4 v[184:187], a[88:91], v[216:219], v[184:187], v40, v24 op_sel_hi:[0,0,0] cbsz:4 blgp:4// 000000007038: D3AC7000 00023128 D3AD0CB8 8EE3B158
	v_mfma_scale_f32_16x16x128_f8f6f4 v[156:159], a[92:95], v[208:211], v[156:159], v40, v24 op_sel_hi:[0,0,0] cbsz:4 blgp:4// 000000007048: D3AC6800 00023128 D3AD0C9C 8E73A15C
	buffer_load_dwordx4 a[28:31], v59, s[24:27], 0 offen       // 000000007058: E05C1000 80861C3B
	v_mfma_scale_f32_16x16x128_f8f6f4 v[188:191], a[92:95], v[216:219], v[188:191], v40, v24 op_sel_hi:[0,0,0] cbsz:4 blgp:4// 000000007060: D3AC7800 00023128 D3AD0CBC 8EF3B15C
	s_waitcnt vmcnt(18)                                        // 000000007070: BF8C4F72
	v_mfma_scale_f32_16x16x128_f8f6f4 v[128:131], a[96:99], v[212:215], v[128:131], v37, v24 op_sel_hi:[0,0,0] cbsz:4 blgp:4// 000000007074: D3AC6000 18023125 D3AD0C80 8E03A960
	buffer_load_dwordx4 a[32:35], v52, s[24:27], 0 offen offset:1024// 000000007084: E05C1400 80862034
	v_mfma_scale_f32_16x16x128_f8f6f4 v[160:163], a[96:99], v[220:223], v[160:163], v37, v24 op_sel_hi:[0,0,0] cbsz:4 blgp:4// 00000000708C: D3AC7000 18023125 D3AD0CA0 8E83B960
	ds_read_b128 v[192:195], v6                                // 00000000709C: D9FE0000 C0000006
	ds_read_b128 v[196:199], v6 offset:64                      // 0000000070A4: D9FE0040 C4000006
	v_mfma_scale_f32_16x16x128_f8f6f4 v[132:135], a[100:103], v[212:215], v[132:135], v37, v24 op_sel_hi:[0,0,0] cbsz:4 blgp:4// 0000000070AC: D3AC6800 18023125 D3AD0C84 8E13A964
	buffer_load_dwordx4 a[36:39], v53, s[24:27], 0 offen offset:1024// 0000000070BC: E05C1400 80862435
	v_mfma_scale_f32_16x16x128_f8f6f4 v[164:167], a[100:103], v[220:223], v[164:167], v37, v24 op_sel_hi:[0,0,0] cbsz:4 blgp:4// 0000000070C4: D3AC7800 18023125 D3AD0CA4 8E93B964
	ds_read_b128 v[200:203], v6 offset:512                     // 0000000070D4: D9FE0200 C8000006
	ds_read_b128 v[204:207], v6 offset:576                     // 0000000070DC: D9FE0240 CC000006
	s_waitcnt vmcnt(18)                                        // 0000000070E4: BF8C4F72
	v_mfma_scale_f32_16x16x128_f8f6f4 v[136:139], a[104:107], v[212:215], v[136:139], v38, v24 op_sel_hi:[0,0,0] cbsz:4 blgp:4// 0000000070E8: D3AC6000 18023126 D3AD0C88 8E23A968
	buffer_load_dwordx4 a[40:43], v54, s[24:27], 0 offen offset:1024// 0000000070F8: E05C1400 80862836
	v_mfma_scale_f32_16x16x128_f8f6f4 v[168:171], a[104:107], v[220:223], v[168:171], v38, v24 op_sel_hi:[0,0,0] cbsz:4 blgp:4// 000000007100: D3AC7000 18023126 D3AD0CA8 8EA3B968
	v_mfma_scale_f32_16x16x128_f8f6f4 v[140:143], a[108:111], v[212:215], v[140:143], v38, v24 op_sel_hi:[0,0,0] cbsz:4 blgp:4// 000000007110: D3AC6800 18023126 D3AD0C8C 8E33A96C
	buffer_load_dwordx4 a[44:47], v55, s[24:27], 0 offen offset:1024// 000000007120: E05C1400 80862C37
	v_mfma_scale_f32_16x16x128_f8f6f4 v[172:175], a[108:111], v[220:223], v[172:175], v38, v24 op_sel_hi:[0,0,0] cbsz:4 blgp:4// 000000007128: D3AC7800 18023126 D3AD0CAC 8EB3B96C
	s_waitcnt vmcnt(18)                                        // 000000007138: BF8C4F72
	v_mfma_scale_f32_16x16x128_f8f6f4 v[144:147], a[112:115], v[212:215], v[144:147], v39, v24 op_sel_hi:[0,0,0] cbsz:4 blgp:4// 00000000713C: D3AC6000 18023127 D3AD0C90 8E43A970
	buffer_load_dwordx4 a[48:51], v56, s[24:27], 0 offen offset:1024// 00000000714C: E05C1400 80863038
	v_mfma_scale_f32_16x16x128_f8f6f4 v[176:179], a[112:115], v[220:223], v[176:179], v39, v24 op_sel_hi:[0,0,0] cbsz:4 blgp:4// 000000007154: D3AC7000 18023127 D3AD0CB0 8EC3B970
	v_mfma_scale_f32_16x16x128_f8f6f4 v[148:151], a[116:119], v[212:215], v[148:151], v39, v24 op_sel_hi:[0,0,0] cbsz:4 blgp:4// 000000007164: D3AC6800 18023127 D3AD0C94 8E53A974
	buffer_load_dwordx4 a[52:55], v57, s[24:27], 0 offen offset:1024// 000000007174: E05C1400 80863439
	v_mfma_scale_f32_16x16x128_f8f6f4 v[180:183], a[116:119], v[220:223], v[180:183], v39, v24 op_sel_hi:[0,0,0] cbsz:4 blgp:4// 00000000717C: D3AC7800 18023127 D3AD0CB4 8ED3B974
	s_waitcnt vmcnt(18)                                        // 00000000718C: BF8C4F72
	v_mfma_scale_f32_16x16x128_f8f6f4 v[152:155], a[120:123], v[212:215], v[152:155], v40, v24 op_sel_hi:[0,0,0] cbsz:4 blgp:4// 000000007190: D3AC6000 18023128 D3AD0C98 8E63A978
	buffer_load_dwordx4 a[56:59], v58, s[24:27], 0 offen offset:1024// 0000000071A0: E05C1400 8086383A
	v_mfma_scale_f32_16x16x128_f8f6f4 v[184:187], a[120:123], v[220:223], v[184:187], v40, v24 op_sel_hi:[0,0,0] cbsz:4 blgp:4// 0000000071A8: D3AC7000 18023128 D3AD0CB8 8EE3B978
	v_mfma_scale_f32_16x16x128_f8f6f4 v[156:159], a[124:127], v[212:215], v[156:159], v40, v24 op_sel_hi:[0,0,0] cbsz:4 blgp:4// 0000000071B8: D3AC6800 18023128 D3AD0C9C 8E73A97C
	buffer_load_dwordx4 a[60:63], v59, s[24:27], 0 offen offset:1024// 0000000071C8: E05C1400 80863C3B
	v_mfma_scale_f32_16x16x128_f8f6f4 v[188:191], a[124:127], v[220:223], v[188:191], v40, v24 op_sel_hi:[0,0,0] cbsz:4 blgp:4// 0000000071D0: D3AC7800 18023128 D3AD0CBC 8EF3B97C
	s_add_u32 s60, 0x200, s80                                  // 0000000071E0: 803C50FF 00000200
	s_cmp_lt_u32 s60, s81                                      // 0000000071E8: BF0A513C
	s_cselect_b32 s57, s57, 0                                  // 0000000071EC: 85398039
	s_cselect_b32 s3, s3, 0                                    // 0000000071F0: 85038003
	s_add_u32 s60, 0x200, s80                                  // 0000000071F4: 803C50FF 00000200
	s_cmp_lt_u32 s60, s81                                      // 0000000071FC: BF0A513C
	s_cselect_b32 s58, s58, 0                                  // 000000007200: 853A803A
	s_add_u32 s20, s57, s20                                    // 000000007204: 80141439
	s_addc_u32 s21, 0, s21                                     // 000000007208: 82151580
	s_add_u32 s28, s3, s28                                     // 00000000720C: 801C1C03
	s_addc_u32 s29, 0, s29                                     // 000000007210: 821D1D80
	s_add_u32 s24, s58, s24                                    // 000000007214: 8018183A
	s_addc_u32 s25, 0, s25                                     // 000000007218: 82191980
	s_add_u32 s92, s90, s92                                    // 00000000721C: 805C5C5A
	s_addc_u32 s93, 0, s93                                     // 000000007220: 825D5D80
	s_addk_i32 s80, 0x100                                      // 000000007224: B7500100
	s_cmp_lt_i32 s80, s81                                      // 000000007228: BF045150
	s_cbranch_scc0 label_110D                                  // 00000000722C: BF840001
	s_branch label_0DF8                                        // 000000007230: BF82FCEB

0000000000007234 <label_110D>:
	s_mov_b32 s36, -1                                          // 000000007234: BEA400C1
	s_mov_b32 s37, -1                                          // 000000007238: BEA500C1
	s_mov_b64 s[60:61], 0                                      // 00000000723C: BEBC0180
	s_cmp_lt_u32 s82, s66                                      // 000000007240: BF0A4252
	s_cselect_b64 s[20:21], s[36:37], s[60:61]                 // 000000007244: 85943C24
	s_cmp_lt_u32 s83, s66                                      // 000000007248: BF0A4253
	s_cselect_b64 s[22:23], s[36:37], s[60:61]                 // 00000000724C: 85963C24
	s_cmp_lt_u32 s84, s66                                      // 000000007250: BF0A4254
	s_cselect_b64 s[24:25], s[36:37], s[60:61]                 // 000000007254: 85983C24
	s_cmp_lt_u32 s85, s66                                      // 000000007258: BF0A4255
	s_cselect_b64 s[26:27], s[36:37], s[60:61]                 // 00000000725C: 859A3C24
	s_cmp_lt_u32 s86, s66                                      // 000000007260: BF0A4256
	s_cselect_b64 s[28:29], s[36:37], s[60:61]                 // 000000007264: 859C3C24
	s_cmp_lt_u32 s87, s66                                      // 000000007268: BF0A4257
	s_cselect_b64 s[30:31], s[36:37], s[60:61]                 // 00000000726C: 859E3C24
	s_cmp_lt_u32 s88, s66                                      // 000000007270: BF0A4258
	s_cselect_b64 s[32:33], s[36:37], s[60:61]                 // 000000007274: 85A03C24
	s_cmp_lt_u32 s89, s66                                      // 000000007278: BF0A4259
	s_cselect_b64 s[34:35], s[36:37], s[60:61]                 // 00000000727C: 85A23C24
	v_mov_b32_e32 v1, 0xbfcc4231                               // 000000007280: 7E0202FF BFCC4231
	s_waitcnt vmcnt(14)                                        // 000000007288: BF8C0F7E
	buffer_load_dwordx4 a[0:3], v60, s[12:15], 0 offen         // 00000000728C: E05C1000 8083003C
	v_mul_f32_e64 v2, -v64, s6                                 // 000000007294: D1050002 20000D40
	v_mul_f32_e64 v3, -v65, s6                                 // 00000000729C: D1050003 20000D41
	v_mul_f32_e64 v4, -v66, s6                                 // 0000000072A4: D1050004 20000D42
	v_mul_f32_e64 v5, -v67, s6                                 // 0000000072AC: D1050005 20000D43
	v_exp_f32_e32 v2, v2                                       // 0000000072B4: 7E044102
	v_exp_f32_e32 v3, v3                                       // 0000000072B8: 7E064103
	v_exp_f32_e32 v4, v4                                       // 0000000072BC: 7E084104
	v_exp_f32_e32 v5, v5                                       // 0000000072C0: 7E0A4105
	buffer_load_dwordx4 a[4:7], v61, s[12:15], 0 offen         // 0000000072C4: E05C1000 8083043D
	v_add_f32_e64 v2, v2, 1.0                                  // 0000000072CC: D1010002 0001E502
	v_add_f32_e64 v3, v3, 1.0                                  // 0000000072D4: D1010003 0001E503
	v_add_f32_e64 v4, v4, 1.0                                  // 0000000072DC: D1010004 0001E504
	v_add_f32_e64 v5, v5, 1.0                                  // 0000000072E4: D1010005 0001E505
	v_rcp_f32_e32 v2, v2                                       // 0000000072EC: 7E044502
	v_rcp_f32_e32 v3, v3                                       // 0000000072F0: 7E064503
	v_rcp_f32_e32 v4, v4                                       // 0000000072F4: 7E084504
	v_rcp_f32_e32 v5, v5                                       // 0000000072F8: 7E0A4505
	v_mul_f32_e32 v64, v64, v2                                 // 0000000072FC: 0A800540
	v_mul_f32_e32 v65, v65, v3                                 // 000000007300: 0A820741
	v_mul_f32_e32 v66, v66, v4                                 // 000000007304: 0A840942
	v_mul_f32_e32 v67, v67, v5                                 // 000000007308: 0A860B43
	v_mul_f32_e32 v64, v64, v128                               // 00000000730C: 0A810140
	v_mul_f32_e32 v65, v65, v129                               // 000000007310: 0A830341
	v_mul_f32_e32 v66, v66, v130                               // 000000007314: 0A850542
	v_mul_f32_e32 v67, v67, v131                               // 000000007318: 0A870743
	s_waitcnt vmcnt(14)                                        // 00000000731C: BF8C0F7E
	buffer_load_dwordx4 a[8:11], v62, s[12:15], 0 offen        // 000000007320: E05C1000 8083083E
	v_mul_f32_e64 v2, -v68, s6                                 // 000000007328: D1050002 20000D44
	v_mul_f32_e64 v3, -v69, s6                                 // 000000007330: D1050003 20000D45
	v_mul_f32_e64 v4, -v70, s6                                 // 000000007338: D1050004 20000D46
	v_mul_f32_e64 v5, -v71, s6                                 // 000000007340: D1050005 20000D47
	v_exp_f32_e32 v2, v2                                       // 000000007348: 7E044102
	v_exp_f32_e32 v3, v3                                       // 00000000734C: 7E064103
	v_exp_f32_e32 v4, v4                                       // 000000007350: 7E084104
	v_exp_f32_e32 v5, v5                                       // 000000007354: 7E0A4105
	buffer_load_dwordx4 a[12:15], v63, s[12:15], 0 offen       // 000000007358: E05C1000 80830C3F
	v_add_f32_e64 v2, v2, 1.0                                  // 000000007360: D1010002 0001E502
	v_add_f32_e64 v3, v3, 1.0                                  // 000000007368: D1010003 0001E503
	v_add_f32_e64 v4, v4, 1.0                                  // 000000007370: D1010004 0001E504
	v_add_f32_e64 v5, v5, 1.0                                  // 000000007378: D1010005 0001E505
	v_rcp_f32_e32 v2, v2                                       // 000000007380: 7E044502
	v_rcp_f32_e32 v3, v3                                       // 000000007384: 7E064503
	v_rcp_f32_e32 v4, v4                                       // 000000007388: 7E084504
	v_rcp_f32_e32 v5, v5                                       // 00000000738C: 7E0A4505
	v_mul_f32_e32 v68, v68, v2                                 // 000000007390: 0A880544
	v_mul_f32_e32 v69, v69, v3                                 // 000000007394: 0A8A0745
	v_mul_f32_e32 v70, v70, v4                                 // 000000007398: 0A8C0946
	v_mul_f32_e32 v71, v71, v5                                 // 00000000739C: 0A8E0B47
	v_mul_f32_e32 v68, v68, v132                               // 0000000073A0: 0A890944
	v_mul_f32_e32 v69, v69, v133                               // 0000000073A4: 0A8B0B45
	v_mul_f32_e32 v70, v70, v134                               // 0000000073A8: 0A8D0D46
	v_mul_f32_e32 v71, v71, v135                               // 0000000073AC: 0A8F0F47
	s_waitcnt vmcnt(14)                                        // 0000000073B0: BF8C0F7E
	buffer_load_dwordx4 a[16:19], v60, s[12:15], 0 offen offset:1024// 0000000073B4: E05C1400 8083103C
	v_mul_f32_e64 v2, -v72, s6                                 // 0000000073BC: D1050002 20000D48
	v_mul_f32_e64 v3, -v73, s6                                 // 0000000073C4: D1050003 20000D49
	v_mul_f32_e64 v4, -v74, s6                                 // 0000000073CC: D1050004 20000D4A
	v_mul_f32_e64 v5, -v75, s6                                 // 0000000073D4: D1050005 20000D4B
	v_exp_f32_e32 v2, v2                                       // 0000000073DC: 7E044102
	v_exp_f32_e32 v3, v3                                       // 0000000073E0: 7E064103
	v_exp_f32_e32 v4, v4                                       // 0000000073E4: 7E084104
	v_exp_f32_e32 v5, v5                                       // 0000000073E8: 7E0A4105
	buffer_load_dwordx4 a[20:23], v61, s[12:15], 0 offen offset:1024// 0000000073EC: E05C1400 8083143D
	v_add_f32_e64 v2, v2, 1.0                                  // 0000000073F4: D1010002 0001E502
	v_add_f32_e64 v3, v3, 1.0                                  // 0000000073FC: D1010003 0001E503
	v_add_f32_e64 v4, v4, 1.0                                  // 000000007404: D1010004 0001E504
	v_add_f32_e64 v5, v5, 1.0                                  // 00000000740C: D1010005 0001E505
	v_rcp_f32_e32 v2, v2                                       // 000000007414: 7E044502
	v_rcp_f32_e32 v3, v3                                       // 000000007418: 7E064503
	v_rcp_f32_e32 v4, v4                                       // 00000000741C: 7E084504
	v_rcp_f32_e32 v5, v5                                       // 000000007420: 7E0A4505
	v_mul_f32_e32 v72, v72, v2                                 // 000000007424: 0A900548
	v_mul_f32_e32 v73, v73, v3                                 // 000000007428: 0A920749
	v_mul_f32_e32 v74, v74, v4                                 // 00000000742C: 0A94094A
	v_mul_f32_e32 v75, v75, v5                                 // 000000007430: 0A960B4B
	v_mul_f32_e32 v72, v72, v136                               // 000000007434: 0A911148
	v_mul_f32_e32 v73, v73, v137                               // 000000007438: 0A931349
	v_mul_f32_e32 v74, v74, v138                               // 00000000743C: 0A95154A
	v_mul_f32_e32 v75, v75, v139                               // 000000007440: 0A97174B
	s_waitcnt vmcnt(14)                                        // 000000007444: BF8C0F7E
	buffer_load_dwordx4 a[24:27], v62, s[12:15], 0 offen offset:1024// 000000007448: E05C1400 8083183E
	v_mul_f32_e64 v2, -v76, s6                                 // 000000007450: D1050002 20000D4C
	v_mul_f32_e64 v3, -v77, s6                                 // 000000007458: D1050003 20000D4D
	v_mul_f32_e64 v4, -v78, s6                                 // 000000007460: D1050004 20000D4E
	v_mul_f32_e64 v5, -v79, s6                                 // 000000007468: D1050005 20000D4F
	v_exp_f32_e32 v2, v2                                       // 000000007470: 7E044102
	v_exp_f32_e32 v3, v3                                       // 000000007474: 7E064103
	v_exp_f32_e32 v4, v4                                       // 000000007478: 7E084104
	v_exp_f32_e32 v5, v5                                       // 00000000747C: 7E0A4105
	buffer_load_dwordx4 a[28:31], v63, s[12:15], 0 offen offset:1024// 000000007480: E05C1400 80831C3F
	v_add_f32_e64 v2, v2, 1.0                                  // 000000007488: D1010002 0001E502
	v_add_f32_e64 v3, v3, 1.0                                  // 000000007490: D1010003 0001E503
	v_add_f32_e64 v4, v4, 1.0                                  // 000000007498: D1010004 0001E504
	v_add_f32_e64 v5, v5, 1.0                                  // 0000000074A0: D1010005 0001E505
	v_rcp_f32_e32 v2, v2                                       // 0000000074A8: 7E044502
	v_rcp_f32_e32 v3, v3                                       // 0000000074AC: 7E064503
	v_rcp_f32_e32 v4, v4                                       // 0000000074B0: 7E084504
	v_rcp_f32_e32 v5, v5                                       // 0000000074B4: 7E0A4505
	v_mul_f32_e32 v76, v76, v2                                 // 0000000074B8: 0A98054C
	v_mul_f32_e32 v77, v77, v3                                 // 0000000074BC: 0A9A074D
	v_mul_f32_e32 v78, v78, v4                                 // 0000000074C0: 0A9C094E
	v_mul_f32_e32 v79, v79, v5                                 // 0000000074C4: 0A9E0B4F
	v_mul_f32_e32 v76, v76, v140                               // 0000000074C8: 0A99194C
	v_mul_f32_e32 v77, v77, v141                               // 0000000074CC: 0A9B1B4D
	v_mul_f32_e32 v78, v78, v142                               // 0000000074D0: 0A9D1D4E
	v_mul_f32_e32 v79, v79, v143                               // 0000000074D4: 0A9F1F4F
	s_waitcnt vmcnt(14)                                        // 0000000074D8: BF8C0F7E
	buffer_load_dwordx4 a[32:35], v60, s[12:15], 0 offen offset:2048// 0000000074DC: E05C1800 8083203C
	v_mul_f32_e64 v2, -v80, s6                                 // 0000000074E4: D1050002 20000D50
	v_mul_f32_e64 v3, -v81, s6                                 // 0000000074EC: D1050003 20000D51
	v_mul_f32_e64 v4, -v82, s6                                 // 0000000074F4: D1050004 20000D52
	v_mul_f32_e64 v5, -v83, s6                                 // 0000000074FC: D1050005 20000D53
	v_exp_f32_e32 v2, v2                                       // 000000007504: 7E044102
	v_exp_f32_e32 v3, v3                                       // 000000007508: 7E064103
	v_exp_f32_e32 v4, v4                                       // 00000000750C: 7E084104
	v_exp_f32_e32 v5, v5                                       // 000000007510: 7E0A4105
	buffer_load_dwordx4 a[36:39], v61, s[12:15], 0 offen offset:2048// 000000007514: E05C1800 8083243D
	v_add_f32_e64 v2, v2, 1.0                                  // 00000000751C: D1010002 0001E502
	v_add_f32_e64 v3, v3, 1.0                                  // 000000007524: D1010003 0001E503
	v_add_f32_e64 v4, v4, 1.0                                  // 00000000752C: D1010004 0001E504
	v_add_f32_e64 v5, v5, 1.0                                  // 000000007534: D1010005 0001E505
	v_rcp_f32_e32 v2, v2                                       // 00000000753C: 7E044502
	v_rcp_f32_e32 v3, v3                                       // 000000007540: 7E064503
	v_rcp_f32_e32 v4, v4                                       // 000000007544: 7E084504
	v_rcp_f32_e32 v5, v5                                       // 000000007548: 7E0A4505
	v_mul_f32_e32 v80, v80, v2                                 // 00000000754C: 0AA00550
	v_mul_f32_e32 v81, v81, v3                                 // 000000007550: 0AA20751
	v_mul_f32_e32 v82, v82, v4                                 // 000000007554: 0AA40952
	v_mul_f32_e32 v83, v83, v5                                 // 000000007558: 0AA60B53
	v_mul_f32_e32 v80, v80, v144                               // 00000000755C: 0AA12150
	v_mul_f32_e32 v81, v81, v145                               // 000000007560: 0AA32351
	v_mul_f32_e32 v82, v82, v146                               // 000000007564: 0AA52552
	v_mul_f32_e32 v83, v83, v147                               // 000000007568: 0AA72753
	s_waitcnt vmcnt(14)                                        // 00000000756C: BF8C0F7E
	buffer_load_dwordx4 a[40:43], v62, s[12:15], 0 offen offset:2048// 000000007570: E05C1800 8083283E
	v_mul_f32_e64 v2, -v84, s6                                 // 000000007578: D1050002 20000D54
	v_mul_f32_e64 v3, -v85, s6                                 // 000000007580: D1050003 20000D55
	v_mul_f32_e64 v4, -v86, s6                                 // 000000007588: D1050004 20000D56
	v_mul_f32_e64 v5, -v87, s6                                 // 000000007590: D1050005 20000D57
	v_exp_f32_e32 v2, v2                                       // 000000007598: 7E044102
	v_exp_f32_e32 v3, v3                                       // 00000000759C: 7E064103
	v_exp_f32_e32 v4, v4                                       // 0000000075A0: 7E084104
	v_exp_f32_e32 v5, v5                                       // 0000000075A4: 7E0A4105
	buffer_load_dwordx4 a[44:47], v63, s[12:15], 0 offen offset:2048// 0000000075A8: E05C1800 80832C3F
	v_add_f32_e64 v2, v2, 1.0                                  // 0000000075B0: D1010002 0001E502
	v_add_f32_e64 v3, v3, 1.0                                  // 0000000075B8: D1010003 0001E503
	v_add_f32_e64 v4, v4, 1.0                                  // 0000000075C0: D1010004 0001E504
	v_add_f32_e64 v5, v5, 1.0                                  // 0000000075C8: D1010005 0001E505
	v_rcp_f32_e32 v2, v2                                       // 0000000075D0: 7E044502
	v_rcp_f32_e32 v3, v3                                       // 0000000075D4: 7E064503
	v_rcp_f32_e32 v4, v4                                       // 0000000075D8: 7E084504
	v_rcp_f32_e32 v5, v5                                       // 0000000075DC: 7E0A4505
	v_mul_f32_e32 v84, v84, v2                                 // 0000000075E0: 0AA80554
	v_mul_f32_e32 v85, v85, v3                                 // 0000000075E4: 0AAA0755
	v_mul_f32_e32 v86, v86, v4                                 // 0000000075E8: 0AAC0956
	v_mul_f32_e32 v87, v87, v5                                 // 0000000075EC: 0AAE0B57
	v_mul_f32_e32 v84, v84, v148                               // 0000000075F0: 0AA92954
	v_mul_f32_e32 v85, v85, v149                               // 0000000075F4: 0AAB2B55
	v_mul_f32_e32 v86, v86, v150                               // 0000000075F8: 0AAD2D56
	v_mul_f32_e32 v87, v87, v151                               // 0000000075FC: 0AAF2F57
	s_waitcnt vmcnt(14)                                        // 000000007600: BF8C0F7E
	buffer_load_dwordx4 a[48:51], v60, s[12:15], 0 offen offset:3072// 000000007604: E05C1C00 8083303C
	v_mul_f32_e64 v2, -v88, s6                                 // 00000000760C: D1050002 20000D58
	v_mul_f32_e64 v3, -v89, s6                                 // 000000007614: D1050003 20000D59
	v_mul_f32_e64 v4, -v90, s6                                 // 00000000761C: D1050004 20000D5A
	v_mul_f32_e64 v5, -v91, s6                                 // 000000007624: D1050005 20000D5B
	v_exp_f32_e32 v2, v2                                       // 00000000762C: 7E044102
	v_exp_f32_e32 v3, v3                                       // 000000007630: 7E064103
	v_exp_f32_e32 v4, v4                                       // 000000007634: 7E084104
	v_exp_f32_e32 v5, v5                                       // 000000007638: 7E0A4105
	buffer_load_dwordx4 a[52:55], v61, s[12:15], 0 offen offset:3072// 00000000763C: E05C1C00 8083343D
	v_add_f32_e64 v2, v2, 1.0                                  // 000000007644: D1010002 0001E502
	v_add_f32_e64 v3, v3, 1.0                                  // 00000000764C: D1010003 0001E503
	v_add_f32_e64 v4, v4, 1.0                                  // 000000007654: D1010004 0001E504
	v_add_f32_e64 v5, v5, 1.0                                  // 00000000765C: D1010005 0001E505
	v_rcp_f32_e32 v2, v2                                       // 000000007664: 7E044502
	v_rcp_f32_e32 v3, v3                                       // 000000007668: 7E064503
	v_rcp_f32_e32 v4, v4                                       // 00000000766C: 7E084504
	v_rcp_f32_e32 v5, v5                                       // 000000007670: 7E0A4505
	v_mul_f32_e32 v88, v88, v2                                 // 000000007674: 0AB00558
	v_mul_f32_e32 v89, v89, v3                                 // 000000007678: 0AB20759
	v_mul_f32_e32 v90, v90, v4                                 // 00000000767C: 0AB4095A
	v_mul_f32_e32 v91, v91, v5                                 // 000000007680: 0AB60B5B
	v_mul_f32_e32 v88, v88, v152                               // 000000007684: 0AB13158
	v_mul_f32_e32 v89, v89, v153                               // 000000007688: 0AB33359
	v_mul_f32_e32 v90, v90, v154                               // 00000000768C: 0AB5355A
	v_mul_f32_e32 v91, v91, v155                               // 000000007690: 0AB7375B
	s_waitcnt vmcnt(14)                                        // 000000007694: BF8C0F7E
	buffer_load_dwordx4 a[56:59], v62, s[12:15], 0 offen offset:3072// 000000007698: E05C1C00 8083383E
	v_mul_f32_e64 v2, -v92, s6                                 // 0000000076A0: D1050002 20000D5C
	v_mul_f32_e64 v3, -v93, s6                                 // 0000000076A8: D1050003 20000D5D
	v_mul_f32_e64 v4, -v94, s6                                 // 0000000076B0: D1050004 20000D5E
	v_mul_f32_e64 v5, -v95, s6                                 // 0000000076B8: D1050005 20000D5F
	v_exp_f32_e32 v2, v2                                       // 0000000076C0: 7E044102
	v_exp_f32_e32 v3, v3                                       // 0000000076C4: 7E064103
	v_exp_f32_e32 v4, v4                                       // 0000000076C8: 7E084104
	v_exp_f32_e32 v5, v5                                       // 0000000076CC: 7E0A4105
	buffer_load_dwordx4 a[60:63], v63, s[12:15], 0 offen offset:3072// 0000000076D0: E05C1C00 80833C3F
	v_add_f32_e64 v2, v2, 1.0                                  // 0000000076D8: D1010002 0001E502
	v_add_f32_e64 v3, v3, 1.0                                  // 0000000076E0: D1010003 0001E503
	v_add_f32_e64 v4, v4, 1.0                                  // 0000000076E8: D1010004 0001E504
	v_add_f32_e64 v5, v5, 1.0                                  // 0000000076F0: D1010005 0001E505
	v_rcp_f32_e32 v2, v2                                       // 0000000076F8: 7E044502
	v_rcp_f32_e32 v3, v3                                       // 0000000076FC: 7E064503
	v_rcp_f32_e32 v4, v4                                       // 000000007700: 7E084504
	v_rcp_f32_e32 v5, v5                                       // 000000007704: 7E0A4505
	v_mul_f32_e32 v92, v92, v2                                 // 000000007708: 0AB8055C
	v_mul_f32_e32 v93, v93, v3                                 // 00000000770C: 0ABA075D
	v_mul_f32_e32 v94, v94, v4                                 // 000000007710: 0ABC095E
	v_mul_f32_e32 v95, v95, v5                                 // 000000007714: 0ABE0B5F
	v_mul_f32_e32 v92, v92, v156                               // 000000007718: 0AB9395C
	v_mul_f32_e32 v93, v93, v157                               // 00000000771C: 0ABB3B5D
	v_mul_f32_e32 v94, v94, v158                               // 000000007720: 0ABD3D5E
	v_mul_f32_e32 v95, v95, v159                               // 000000007724: 0ABF3F5F
	s_waitcnt vmcnt(14)                                        // 000000007728: BF8C0F7E
	v_mul_f32_e64 v2, -v96, s6                                 // 00000000772C: D1050002 20000D60
	v_mul_f32_e64 v3, -v97, s6                                 // 000000007734: D1050003 20000D61
	v_mul_f32_e64 v4, -v98, s6                                 // 00000000773C: D1050004 20000D62
	v_mul_f32_e64 v5, -v99, s6                                 // 000000007744: D1050005 20000D63
	v_exp_f32_e32 v2, v2                                       // 00000000774C: 7E044102
	v_exp_f32_e32 v3, v3                                       // 000000007750: 7E064103
	v_exp_f32_e32 v4, v4                                       // 000000007754: 7E084104
	v_exp_f32_e32 v5, v5                                       // 000000007758: 7E0A4105
	v_add_f32_e64 v2, v2, 1.0                                  // 00000000775C: D1010002 0001E502
	v_add_f32_e64 v3, v3, 1.0                                  // 000000007764: D1010003 0001E503
	v_add_f32_e64 v4, v4, 1.0                                  // 00000000776C: D1010004 0001E504
	v_add_f32_e64 v5, v5, 1.0                                  // 000000007774: D1010005 0001E505
	v_rcp_f32_e32 v2, v2                                       // 00000000777C: 7E044502
	v_rcp_f32_e32 v3, v3                                       // 000000007780: 7E064503
	v_rcp_f32_e32 v4, v4                                       // 000000007784: 7E084504
	v_rcp_f32_e32 v5, v5                                       // 000000007788: 7E0A4505
	v_mul_f32_e32 v96, v96, v2                                 // 00000000778C: 0AC00560
	v_mul_f32_e32 v97, v97, v3                                 // 000000007790: 0AC20761
	v_mul_f32_e32 v98, v98, v4                                 // 000000007794: 0AC40962
	v_mul_f32_e32 v99, v99, v5                                 // 000000007798: 0AC60B63
	v_mul_f32_e32 v96, v96, v160                               // 00000000779C: 0AC14160
	v_mul_f32_e32 v97, v97, v161                               // 0000000077A0: 0AC34361
	v_mul_f32_e32 v98, v98, v162                               // 0000000077A4: 0AC54562
	v_mul_f32_e32 v99, v99, v163                               // 0000000077A8: 0AC74763
	s_waitcnt vmcnt(14)                                        // 0000000077AC: BF8C0F7E
	v_mul_f32_e64 v2, -v100, s6                                // 0000000077B0: D1050002 20000D64
	v_mul_f32_e64 v3, -v101, s6                                // 0000000077B8: D1050003 20000D65
	v_mul_f32_e64 v4, -v102, s6                                // 0000000077C0: D1050004 20000D66
	v_mul_f32_e64 v5, -v103, s6                                // 0000000077C8: D1050005 20000D67
	v_exp_f32_e32 v2, v2                                       // 0000000077D0: 7E044102
	v_exp_f32_e32 v3, v3                                       // 0000000077D4: 7E064103
	v_exp_f32_e32 v4, v4                                       // 0000000077D8: 7E084104
	v_exp_f32_e32 v5, v5                                       // 0000000077DC: 7E0A4105
	v_add_f32_e64 v2, v2, 1.0                                  // 0000000077E0: D1010002 0001E502
	v_add_f32_e64 v3, v3, 1.0                                  // 0000000077E8: D1010003 0001E503
	v_add_f32_e64 v4, v4, 1.0                                  // 0000000077F0: D1010004 0001E504
	v_add_f32_e64 v5, v5, 1.0                                  // 0000000077F8: D1010005 0001E505
	v_rcp_f32_e32 v2, v2                                       // 000000007800: 7E044502
	v_rcp_f32_e32 v3, v3                                       // 000000007804: 7E064503
	v_rcp_f32_e32 v4, v4                                       // 000000007808: 7E084504
	v_rcp_f32_e32 v5, v5                                       // 00000000780C: 7E0A4505
	v_mul_f32_e32 v100, v100, v2                               // 000000007810: 0AC80564
	v_mul_f32_e32 v101, v101, v3                               // 000000007814: 0ACA0765
	v_mul_f32_e32 v102, v102, v4                               // 000000007818: 0ACC0966
	v_mul_f32_e32 v103, v103, v5                               // 00000000781C: 0ACE0B67
	v_mul_f32_e32 v100, v100, v164                             // 000000007820: 0AC94964
	v_mul_f32_e32 v101, v101, v165                             // 000000007824: 0ACB4B65
	v_mul_f32_e32 v102, v102, v166                             // 000000007828: 0ACD4D66
	v_mul_f32_e32 v103, v103, v167                             // 00000000782C: 0ACF4F67
	s_waitcnt vmcnt(14)                                        // 000000007830: BF8C0F7E
	v_mul_f32_e64 v2, -v104, s6                                // 000000007834: D1050002 20000D68
	v_mul_f32_e64 v3, -v105, s6                                // 00000000783C: D1050003 20000D69
	v_mul_f32_e64 v4, -v106, s6                                // 000000007844: D1050004 20000D6A
	v_mul_f32_e64 v5, -v107, s6                                // 00000000784C: D1050005 20000D6B
	v_exp_f32_e32 v2, v2                                       // 000000007854: 7E044102
	v_exp_f32_e32 v3, v3                                       // 000000007858: 7E064103
	v_exp_f32_e32 v4, v4                                       // 00000000785C: 7E084104
	v_exp_f32_e32 v5, v5                                       // 000000007860: 7E0A4105
	v_add_f32_e64 v2, v2, 1.0                                  // 000000007864: D1010002 0001E502
	v_add_f32_e64 v3, v3, 1.0                                  // 00000000786C: D1010003 0001E503
	v_add_f32_e64 v4, v4, 1.0                                  // 000000007874: D1010004 0001E504
	v_add_f32_e64 v5, v5, 1.0                                  // 00000000787C: D1010005 0001E505
	v_rcp_f32_e32 v2, v2                                       // 000000007884: 7E044502
	v_rcp_f32_e32 v3, v3                                       // 000000007888: 7E064503
	v_rcp_f32_e32 v4, v4                                       // 00000000788C: 7E084504
	v_rcp_f32_e32 v5, v5                                       // 000000007890: 7E0A4505
	v_mul_f32_e32 v104, v104, v2                               // 000000007894: 0AD00568
	v_mul_f32_e32 v105, v105, v3                               // 000000007898: 0AD20769
	v_mul_f32_e32 v106, v106, v4                               // 00000000789C: 0AD4096A
	v_mul_f32_e32 v107, v107, v5                               // 0000000078A0: 0AD60B6B
	v_mul_f32_e32 v104, v104, v168                             // 0000000078A4: 0AD15168
	v_mul_f32_e32 v105, v105, v169                             // 0000000078A8: 0AD35369
	v_mul_f32_e32 v106, v106, v170                             // 0000000078AC: 0AD5556A
	v_mul_f32_e32 v107, v107, v171                             // 0000000078B0: 0AD7576B
	s_waitcnt vmcnt(14)                                        // 0000000078B4: BF8C0F7E
	v_mul_f32_e64 v2, -v108, s6                                // 0000000078B8: D1050002 20000D6C
	v_mul_f32_e64 v3, -v109, s6                                // 0000000078C0: D1050003 20000D6D
	v_mul_f32_e64 v4, -v110, s6                                // 0000000078C8: D1050004 20000D6E
	v_mul_f32_e64 v5, -v111, s6                                // 0000000078D0: D1050005 20000D6F
	v_exp_f32_e32 v2, v2                                       // 0000000078D8: 7E044102
	v_exp_f32_e32 v3, v3                                       // 0000000078DC: 7E064103
	v_exp_f32_e32 v4, v4                                       // 0000000078E0: 7E084104
	v_exp_f32_e32 v5, v5                                       // 0000000078E4: 7E0A4105
	v_add_f32_e64 v2, v2, 1.0                                  // 0000000078E8: D1010002 0001E502
	v_add_f32_e64 v3, v3, 1.0                                  // 0000000078F0: D1010003 0001E503
	v_add_f32_e64 v4, v4, 1.0                                  // 0000000078F8: D1010004 0001E504
	v_add_f32_e64 v5, v5, 1.0                                  // 000000007900: D1010005 0001E505
	v_rcp_f32_e32 v2, v2                                       // 000000007908: 7E044502
	v_rcp_f32_e32 v3, v3                                       // 00000000790C: 7E064503
	v_rcp_f32_e32 v4, v4                                       // 000000007910: 7E084504
	v_rcp_f32_e32 v5, v5                                       // 000000007914: 7E0A4505
	v_mul_f32_e32 v108, v108, v2                               // 000000007918: 0AD8056C
	v_mul_f32_e32 v109, v109, v3                               // 00000000791C: 0ADA076D
	v_mul_f32_e32 v110, v110, v4                               // 000000007920: 0ADC096E
	v_mul_f32_e32 v111, v111, v5                               // 000000007924: 0ADE0B6F
	v_mul_f32_e32 v108, v108, v172                             // 000000007928: 0AD9596C
	v_mul_f32_e32 v109, v109, v173                             // 00000000792C: 0ADB5B6D
	v_mul_f32_e32 v110, v110, v174                             // 000000007930: 0ADD5D6E
	v_mul_f32_e32 v111, v111, v175                             // 000000007934: 0ADF5F6F
	s_waitcnt vmcnt(14)                                        // 000000007938: BF8C0F7E
	v_mul_f32_e64 v2, -v112, s6                                // 00000000793C: D1050002 20000D70
	v_mul_f32_e64 v3, -v113, s6                                // 000000007944: D1050003 20000D71
	v_mul_f32_e64 v4, -v114, s6                                // 00000000794C: D1050004 20000D72
	v_mul_f32_e64 v5, -v115, s6                                // 000000007954: D1050005 20000D73
	v_exp_f32_e32 v2, v2                                       // 00000000795C: 7E044102
	v_exp_f32_e32 v3, v3                                       // 000000007960: 7E064103
	v_exp_f32_e32 v4, v4                                       // 000000007964: 7E084104
	v_exp_f32_e32 v5, v5                                       // 000000007968: 7E0A4105
	v_add_f32_e64 v2, v2, 1.0                                  // 00000000796C: D1010002 0001E502
	v_add_f32_e64 v3, v3, 1.0                                  // 000000007974: D1010003 0001E503
	v_add_f32_e64 v4, v4, 1.0                                  // 00000000797C: D1010004 0001E504
	v_add_f32_e64 v5, v5, 1.0                                  // 000000007984: D1010005 0001E505
	v_rcp_f32_e32 v2, v2                                       // 00000000798C: 7E044502
	v_rcp_f32_e32 v3, v3                                       // 000000007990: 7E064503
	v_rcp_f32_e32 v4, v4                                       // 000000007994: 7E084504
	v_rcp_f32_e32 v5, v5                                       // 000000007998: 7E0A4505
	v_mul_f32_e32 v112, v112, v2                               // 00000000799C: 0AE00570
	v_mul_f32_e32 v113, v113, v3                               // 0000000079A0: 0AE20771
	v_mul_f32_e32 v114, v114, v4                               // 0000000079A4: 0AE40972
	v_mul_f32_e32 v115, v115, v5                               // 0000000079A8: 0AE60B73
	v_mul_f32_e32 v112, v112, v176                             // 0000000079AC: 0AE16170
	v_mul_f32_e32 v113, v113, v177                             // 0000000079B0: 0AE36371
	v_mul_f32_e32 v114, v114, v178                             // 0000000079B4: 0AE56572
	v_mul_f32_e32 v115, v115, v179                             // 0000000079B8: 0AE76773
	s_waitcnt vmcnt(14)                                        // 0000000079BC: BF8C0F7E
	v_mul_f32_e64 v2, -v116, s6                                // 0000000079C0: D1050002 20000D74
	v_mul_f32_e64 v3, -v117, s6                                // 0000000079C8: D1050003 20000D75
	v_mul_f32_e64 v4, -v118, s6                                // 0000000079D0: D1050004 20000D76
	v_mul_f32_e64 v5, -v119, s6                                // 0000000079D8: D1050005 20000D77
	v_exp_f32_e32 v2, v2                                       // 0000000079E0: 7E044102
	v_exp_f32_e32 v3, v3                                       // 0000000079E4: 7E064103
	v_exp_f32_e32 v4, v4                                       // 0000000079E8: 7E084104
	v_exp_f32_e32 v5, v5                                       // 0000000079EC: 7E0A4105
	v_add_f32_e64 v2, v2, 1.0                                  // 0000000079F0: D1010002 0001E502
	v_add_f32_e64 v3, v3, 1.0                                  // 0000000079F8: D1010003 0001E503
	v_add_f32_e64 v4, v4, 1.0                                  // 000000007A00: D1010004 0001E504
	v_add_f32_e64 v5, v5, 1.0                                  // 000000007A08: D1010005 0001E505
	v_rcp_f32_e32 v2, v2                                       // 000000007A10: 7E044502
	v_rcp_f32_e32 v3, v3                                       // 000000007A14: 7E064503
	v_rcp_f32_e32 v4, v4                                       // 000000007A18: 7E084504
	v_rcp_f32_e32 v5, v5                                       // 000000007A1C: 7E0A4505
	v_mul_f32_e32 v116, v116, v2                               // 000000007A20: 0AE80574
	v_mul_f32_e32 v117, v117, v3                               // 000000007A24: 0AEA0775
	v_mul_f32_e32 v118, v118, v4                               // 000000007A28: 0AEC0976
	v_mul_f32_e32 v119, v119, v5                               // 000000007A2C: 0AEE0B77
	v_mul_f32_e32 v116, v116, v180                             // 000000007A30: 0AE96974
	v_mul_f32_e32 v117, v117, v181                             // 000000007A34: 0AEB6B75
	v_mul_f32_e32 v118, v118, v182                             // 000000007A38: 0AED6D76
	v_mul_f32_e32 v119, v119, v183                             // 000000007A3C: 0AEF6F77
	s_waitcnt vmcnt(14)                                        // 000000007A40: BF8C0F7E
	v_mul_f32_e64 v2, -v120, s6                                // 000000007A44: D1050002 20000D78
	v_mul_f32_e64 v3, -v121, s6                                // 000000007A4C: D1050003 20000D79
	v_mul_f32_e64 v4, -v122, s6                                // 000000007A54: D1050004 20000D7A
	v_mul_f32_e64 v5, -v123, s6                                // 000000007A5C: D1050005 20000D7B
	v_exp_f32_e32 v2, v2                                       // 000000007A64: 7E044102
	v_exp_f32_e32 v3, v3                                       // 000000007A68: 7E064103
	v_exp_f32_e32 v4, v4                                       // 000000007A6C: 7E084104
	v_exp_f32_e32 v5, v5                                       // 000000007A70: 7E0A4105
	v_add_f32_e64 v2, v2, 1.0                                  // 000000007A74: D1010002 0001E502
	v_add_f32_e64 v3, v3, 1.0                                  // 000000007A7C: D1010003 0001E503
	v_add_f32_e64 v4, v4, 1.0                                  // 000000007A84: D1010004 0001E504
	v_add_f32_e64 v5, v5, 1.0                                  // 000000007A8C: D1010005 0001E505
	v_rcp_f32_e32 v2, v2                                       // 000000007A94: 7E044502
	v_rcp_f32_e32 v3, v3                                       // 000000007A98: 7E064503
	v_rcp_f32_e32 v4, v4                                       // 000000007A9C: 7E084504
	v_rcp_f32_e32 v5, v5                                       // 000000007AA0: 7E0A4505
	v_mul_f32_e32 v120, v120, v2                               // 000000007AA4: 0AF00578
	v_mul_f32_e32 v121, v121, v3                               // 000000007AA8: 0AF20779
	v_mul_f32_e32 v122, v122, v4                               // 000000007AAC: 0AF4097A
	v_mul_f32_e32 v123, v123, v5                               // 000000007AB0: 0AF60B7B
	v_mul_f32_e32 v120, v120, v184                             // 000000007AB4: 0AF17178
	v_mul_f32_e32 v121, v121, v185                             // 000000007AB8: 0AF37379
	v_mul_f32_e32 v122, v122, v186                             // 000000007ABC: 0AF5757A
	v_mul_f32_e32 v123, v123, v187                             // 000000007AC0: 0AF7777B
	s_waitcnt vmcnt(14)                                        // 000000007AC4: BF8C0F7E
	v_mul_f32_e64 v2, -v124, s6                                // 000000007AC8: D1050002 20000D7C
	v_mul_f32_e64 v3, -v125, s6                                // 000000007AD0: D1050003 20000D7D
	v_mul_f32_e64 v4, -v126, s6                                // 000000007AD8: D1050004 20000D7E
	v_mul_f32_e64 v5, -v127, s6                                // 000000007AE0: D1050005 20000D7F
	v_exp_f32_e32 v2, v2                                       // 000000007AE8: 7E044102
	v_exp_f32_e32 v3, v3                                       // 000000007AEC: 7E064103
	v_exp_f32_e32 v4, v4                                       // 000000007AF0: 7E084104
	v_exp_f32_e32 v5, v5                                       // 000000007AF4: 7E0A4105
	v_add_f32_e64 v2, v2, 1.0                                  // 000000007AF8: D1010002 0001E502
	v_add_f32_e64 v3, v3, 1.0                                  // 000000007B00: D1010003 0001E503
	v_add_f32_e64 v4, v4, 1.0                                  // 000000007B08: D1010004 0001E504
	v_add_f32_e64 v5, v5, 1.0                                  // 000000007B10: D1010005 0001E505
	v_rcp_f32_e32 v2, v2                                       // 000000007B18: 7E044502
	v_rcp_f32_e32 v3, v3                                       // 000000007B1C: 7E064503
	v_rcp_f32_e32 v4, v4                                       // 000000007B20: 7E084504
	v_rcp_f32_e32 v5, v5                                       // 000000007B24: 7E0A4505
	v_mul_f32_e32 v124, v124, v2                               // 000000007B28: 0AF8057C
	v_mul_f32_e32 v125, v125, v3                               // 000000007B2C: 0AFA077D
	v_mul_f32_e32 v126, v126, v4                               // 000000007B30: 0AFC097E
	v_mul_f32_e32 v127, v127, v5                               // 000000007B34: 0AFE0B7F
	v_mul_f32_e32 v124, v124, v188                             // 000000007B38: 0AF9797C
	v_mul_f32_e32 v125, v125, v189                             // 000000007B3C: 0AFB7B7D
	v_mul_f32_e32 v126, v126, v190                             // 000000007B40: 0AFD7D7E
	v_mul_f32_e32 v127, v127, v191                             // 000000007B44: 0AFF7F7F
	v_lshlrev_b32_e32 v2, 2, v0                                // 000000007B48: 24040082
	s_mul_i32 s60, s82, s71                                    // 000000007B4C: 923C4752
	v_add_u32_e64 v144, v2, s60                                // 000000007B50: D1340090 00007902
	v_mov_b32_e32 v145, 0                                      // 000000007B58: 7F220280
	s_mul_i32 s60, s83, s71                                    // 000000007B5C: 923C4753
	v_add_u32_e64 v146, v2, s60                                // 000000007B60: D1340092 00007902
	v_mov_b32_e32 v147, 0                                      // 000000007B68: 7F260280
	s_mul_i32 s60, s84, s71                                    // 000000007B6C: 923C4754
	v_add_u32_e64 v148, v2, s60                                // 000000007B70: D1340094 00007902
	v_mov_b32_e32 v149, 0                                      // 000000007B78: 7F2A0280
	s_mul_i32 s60, s85, s71                                    // 000000007B7C: 923C4755
	v_add_u32_e64 v150, v2, s60                                // 000000007B80: D1340096 00007902
	v_mov_b32_e32 v151, 0                                      // 000000007B88: 7F2E0280
	s_mul_i32 s60, s86, s71                                    // 000000007B8C: 923C4756
	v_add_u32_e64 v152, v2, s60                                // 000000007B90: D1340098 00007902
	v_mov_b32_e32 v153, 0                                      // 000000007B98: 7F320280
	s_mul_i32 s60, s87, s71                                    // 000000007B9C: 923C4757
	v_add_u32_e64 v154, v2, s60                                // 000000007BA0: D134009A 00007902
	v_mov_b32_e32 v155, 0                                      // 000000007BA8: 7F360280
	s_mul_i32 s60, s88, s71                                    // 000000007BAC: 923C4758
	v_add_u32_e64 v156, v2, s60                                // 000000007BB0: D134009C 00007902
	v_mov_b32_e32 v157, 0                                      // 000000007BB8: 7F3A0280
	s_mul_i32 s60, s89, s71                                    // 000000007BBC: 923C4759
	v_add_u32_e64 v158, v2, s60                                // 000000007BC0: D134009E 00007902
	v_mov_b32_e32 v159, 0                                      // 000000007BC8: 7F3E0280
	buffer_load_dword v25, v10, s[16:19], 0 offen              // 000000007BCC: E0501000 8004190A
	buffer_load_dword v26, v11, s[16:19], 0 offen              // 000000007BD4: E0501000 80041A0B
	buffer_load_dword v27, v10, s[16:19], 0 offen offset:256   // 000000007BDC: E0501100 80041B0A
	buffer_load_dword v28, v11, s[16:19], 0 offen offset:256   // 000000007BE4: E0501100 80041C0B
	v_mov_b32_e32 v43, 0x358637bd                              // 000000007BEC: 7E5602FF 358637BD
	v_mov_b32_e32 v44, 0x358637bd                              // 000000007BF4: 7E5802FF 358637BD
	v_max3_f32 v43, |v64|, |v65|, v43                          // 000000007BFC: D1D3032B 04AE8340
	v_max3_f32 v43, |v66|, |v67|, v43                          // 000000007C04: D1D3032B 04AE8742
	v_max3_f32 v43, |v68|, |v69|, v43                          // 000000007C0C: D1D3032B 04AE8B44
	v_max3_f32 v43, |v70|, |v71|, v43                          // 000000007C14: D1D3032B 04AE8F46
	v_max3_f32 v44, |v96|, |v97|, v44                          // 000000007C1C: D1D3032C 04B2C360
	v_max3_f32 v44, |v98|, |v99|, v44                          // 000000007C24: D1D3032C 04B2C762
	v_max3_f32 v44, |v100|, |v101|, v44                        // 000000007C2C: D1D3032C 04B2CB64
	v_max3_f32 v44, |v102|, |v103|, v44                        // 000000007C34: D1D3032C 04B2CF66
	v_mov_b32_e32 v2, v43                                      // 000000007C3C: 7E04032B
	s_nop 1                                                    // 000000007C40: BF800001
	v_permlane32_swap_b32_e32 v2, v43                          // 000000007C44: 7E04B52B
	v_max_f32_e32 v43, v2, v43                                 // 000000007C48: 16565702
	v_mov_b32_e32 v2, v43                                      // 000000007C4C: 7E04032B
	s_nop 1                                                    // 000000007C50: BF800001
	v_permlane16_swap_b32_e32 v2, v43                          // 000000007C54: 7E04B32B
	v_max_f32_e32 v43, v2, v43                                 // 000000007C58: 16565702
	v_mov_b32_e32 v2, v44                                      // 000000007C5C: 7E04032C
	s_nop 1                                                    // 000000007C60: BF800001
	v_permlane32_swap_b32_e32 v2, v44                          // 000000007C64: 7E04B52C
	v_max_f32_e32 v44, v2, v44                                 // 000000007C68: 16585902
	v_mov_b32_e32 v2, v44                                      // 000000007C6C: 7E04032C
	s_nop 1                                                    // 000000007C70: BF800001
	v_permlane16_swap_b32_e32 v2, v44                          // 000000007C74: 7E04B32C
	v_max_f32_e32 v44, v2, v44                                 // 000000007C78: 16585902
	v_mov_b32_e32 v2, 0x3e800000                               // 000000007C7C: 7E0402FF 3E800000
	v_mul_f32_e32 v43, v2, v43                                 // 000000007C84: 0A565702
	v_mul_f32_e32 v44, v2, v44                                 // 000000007C88: 0A585902
	v_mov_b32_e32 v1, 0x7fff0000                               // 000000007C8C: 7E0202FF 7FFF0000
	v_mov_b32_e32 v5, 0x7fbfffff                               // 000000007C94: 7E0A02FF 7FBFFFFF
	v_bfe_u32 v2, v43, 22, 1                                   // 000000007C9C: D1C80002 02052D2B
	v_and_b32_e32 v3, v43, v5                                  // 000000007CA4: 26060B2B
	v_cmp_eq_u32_e64 s[60:61], v3, 0                           // 000000007CA8: D0CA003C 00010103
	v_cndmask_b32_e64 v4, 1, 0, s[60:61]                       // 000000007CB0: D1000004 00F10081
	v_and_b32_e32 v4, v4, v2                                   // 000000007CB8: 26080504
	v_bfe_u32 v5, v43, 23, 8                                   // 000000007CBC: D1C80005 02212F2B
	v_add_u32_e32 v5, v5, v4                                   // 000000007CC4: 680A0905
	v_cmp_u_f32_e64 s[60:61], v43, v43                         // 000000007CC8: D048003C 0002572B
	v_lshlrev_b32_e32 v43, 23, v5                              // 000000007CD0: 24560A97
	v_cndmask_b32_e64 v43, v43, v1, s[60:61]                   // 000000007CD4: D100002B 00F2032B
	v_mov_b32_e32 v5, 0x7fbfffff                               // 000000007CDC: 7E0A02FF 7FBFFFFF
	v_bfe_u32 v2, v44, 22, 1                                   // 000000007CE4: D1C80002 02052D2C
	v_and_b32_e32 v3, v44, v5                                  // 000000007CEC: 26060B2C
	v_cmp_eq_u32_e64 s[60:61], v3, 0                           // 000000007CF0: D0CA003C 00010103
	v_cndmask_b32_e64 v4, 1, 0, s[60:61]                       // 000000007CF8: D1000004 00F10081
	v_and_b32_e32 v4, v4, v2                                   // 000000007D00: 26080504
	v_bfe_u32 v5, v44, 23, 8                                   // 000000007D04: D1C80005 02212F2C
	v_add_u32_e32 v5, v5, v4                                   // 000000007D0C: 680A0905
	v_cmp_u_f32_e64 s[60:61], v44, v44                         // 000000007D10: D048003C 0002592C
	v_lshlrev_b32_e32 v44, 23, v5                              // 000000007D18: 24580A97
	v_cndmask_b32_e64 v44, v44, v1, s[60:61]                   // 000000007D1C: D100002C 00F2032C
	s_mov_b32 s60, 0xffff                                      // 000000007D24: BEBC00FF 0000FFFF
	v_cvt_scalef32_pk_fp4_f32 v64, v64, v65, v43               // 000000007D2C: D23D0040 04AE8340
	v_cvt_scalef32_pk_fp4_f32 v64, v66, v67, v43 op_sel:[0,0,1,0]// 000000007D34: D23D2040 04AE8742
	v_cvt_scalef32_pk_fp4_f32 v68, v68, v69, v43               // 000000007D3C: D23D0044 04AE8B44
	v_cvt_scalef32_pk_fp4_f32 v68, v70, v71, v43 op_sel:[0,0,1,0]// 000000007D44: D23D2044 04AE8F46
	s_nop 1                                                    // 000000007D4C: BF800001
	v_permlane16_swap_b32_e32 v64, v68                         // 000000007D50: 7E80B344
	s_nop 1                                                    // 000000007D54: BF800001
	v_and_b32_e64 v64, v64, s60                                // 000000007D58: D1130040 00007940
	v_lshlrev_b32_e32 v68, 16, v68                             // 000000007D60: 24888890
	v_or_b32_e32 v64, v64, v68                                 // 000000007D64: 28808940
	v_mov_b32_e32 v68, v64                                     // 000000007D68: 7E880340
	s_nop 1                                                    // 000000007D6C: BF800001
	v_permlane32_swap_b32_e32 v64, v68                         // 000000007D70: 7E80B544
	s_nop 1                                                    // 000000007D74: BF800001
	v_permlane16_swap_b32_e32 v64, v68                         // 000000007D78: 7E80B344
	s_nop 1                                                    // 000000007D7C: BF800001
	v_permlane32_swap_b32_e32 v64, v68                         // 000000007D80: 7E80B544
	s_nop 1                                                    // 000000007D84: BF800001
	v_cvt_scalef32_pk_fp4_f32 v96, v96, v97, v44               // 000000007D88: D23D0060 04B2C360
	v_cvt_scalef32_pk_fp4_f32 v96, v98, v99, v44 op_sel:[0,0,1,0]// 000000007D90: D23D2060 04B2C762
	v_cvt_scalef32_pk_fp4_f32 v100, v100, v101, v44            // 000000007D98: D23D0064 04B2CB64
	v_cvt_scalef32_pk_fp4_f32 v100, v102, v103, v44 op_sel:[0,0,1,0]// 000000007DA0: D23D2064 04B2CF66
	s_nop 1                                                    // 000000007DA8: BF800001
	v_permlane16_swap_b32_e32 v96, v100                        // 000000007DAC: 7EC0B364
	s_nop 1                                                    // 000000007DB0: BF800001
	v_and_b32_e64 v96, v96, s60                                // 000000007DB4: D1130060 00007960
	v_lshlrev_b32_e32 v100, 16, v100                           // 000000007DBC: 24C8C890
	v_or_b32_e32 v96, v96, v100                                // 000000007DC0: 28C0C960
	v_mov_b32_e32 v100, v96                                    // 000000007DC4: 7EC80360
	s_nop 1                                                    // 000000007DC8: BF800001
	v_permlane32_swap_b32_e32 v96, v100                        // 000000007DCC: 7EC0B564
	s_nop 1                                                    // 000000007DD0: BF800001
	v_permlane16_swap_b32_e32 v96, v100                        // 000000007DD4: 7EC0B364
	s_nop 1                                                    // 000000007DD8: BF800001
	v_permlane32_swap_b32_e32 v96, v100                        // 000000007DDC: 7EC0B564
	s_nop 1                                                    // 000000007DE0: BF800001
	v_mov_b32_e32 v45, 0x358637bd                              // 000000007DE4: 7E5A02FF 358637BD
	v_mov_b32_e32 v46, 0x358637bd                              // 000000007DEC: 7E5C02FF 358637BD
	v_max3_f32 v45, |v72|, |v73|, v45                          // 000000007DF4: D1D3032D 04B69348
	v_max3_f32 v45, |v74|, |v75|, v45                          // 000000007DFC: D1D3032D 04B6974A
	v_max3_f32 v45, |v76|, |v77|, v45                          // 000000007E04: D1D3032D 04B69B4C
	v_max3_f32 v45, |v78|, |v79|, v45                          // 000000007E0C: D1D3032D 04B69F4E
	v_max3_f32 v46, |v104|, |v105|, v46                        // 000000007E14: D1D3032E 04BAD368
	v_max3_f32 v46, |v106|, |v107|, v46                        // 000000007E1C: D1D3032E 04BAD76A
	v_max3_f32 v46, |v108|, |v109|, v46                        // 000000007E24: D1D3032E 04BADB6C
	v_max3_f32 v46, |v110|, |v111|, v46                        // 000000007E2C: D1D3032E 04BADF6E
	v_mov_b32_e32 v2, v45                                      // 000000007E34: 7E04032D
	s_nop 1                                                    // 000000007E38: BF800001
	v_permlane32_swap_b32_e32 v2, v45                          // 000000007E3C: 7E04B52D
	v_max_f32_e32 v45, v2, v45                                 // 000000007E40: 165A5B02
	v_mov_b32_e32 v2, v45                                      // 000000007E44: 7E04032D
	s_nop 1                                                    // 000000007E48: BF800001
	v_permlane16_swap_b32_e32 v2, v45                          // 000000007E4C: 7E04B32D
	v_max_f32_e32 v45, v2, v45                                 // 000000007E50: 165A5B02
	v_mov_b32_e32 v2, v46                                      // 000000007E54: 7E04032E
	s_nop 1                                                    // 000000007E58: BF800001
	v_permlane32_swap_b32_e32 v2, v46                          // 000000007E5C: 7E04B52E
	v_max_f32_e32 v46, v2, v46                                 // 000000007E60: 165C5D02
	v_mov_b32_e32 v2, v46                                      // 000000007E64: 7E04032E
	s_nop 1                                                    // 000000007E68: BF800001
	v_permlane16_swap_b32_e32 v2, v46                          // 000000007E6C: 7E04B32E
	v_max_f32_e32 v46, v2, v46                                 // 000000007E70: 165C5D02
	v_mov_b32_e32 v2, 0x3e800000                               // 000000007E74: 7E0402FF 3E800000
	v_mul_f32_e32 v45, v2, v45                                 // 000000007E7C: 0A5A5B02
	v_mul_f32_e32 v46, v2, v46                                 // 000000007E80: 0A5C5D02
	v_mov_b32_e32 v1, 0x7fff0000                               // 000000007E84: 7E0202FF 7FFF0000
	v_mov_b32_e32 v5, 0x7fbfffff                               // 000000007E8C: 7E0A02FF 7FBFFFFF
	v_bfe_u32 v2, v45, 22, 1                                   // 000000007E94: D1C80002 02052D2D
	v_and_b32_e32 v3, v45, v5                                  // 000000007E9C: 26060B2D
	v_cmp_eq_u32_e64 s[60:61], v3, 0                           // 000000007EA0: D0CA003C 00010103
	v_cndmask_b32_e64 v4, 1, 0, s[60:61]                       // 000000007EA8: D1000004 00F10081
	v_and_b32_e32 v4, v4, v2                                   // 000000007EB0: 26080504
	v_bfe_u32 v5, v45, 23, 8                                   // 000000007EB4: D1C80005 02212F2D
	v_add_u32_e32 v5, v5, v4                                   // 000000007EBC: 680A0905
	v_cmp_u_f32_e64 s[60:61], v45, v45                         // 000000007EC0: D048003C 00025B2D
	v_lshlrev_b32_e32 v45, 23, v5                              // 000000007EC8: 245A0A97
	v_cndmask_b32_e64 v45, v45, v1, s[60:61]                   // 000000007ECC: D100002D 00F2032D
	v_mov_b32_e32 v5, 0x7fbfffff                               // 000000007ED4: 7E0A02FF 7FBFFFFF
	v_bfe_u32 v2, v46, 22, 1                                   // 000000007EDC: D1C80002 02052D2E
	v_and_b32_e32 v3, v46, v5                                  // 000000007EE4: 26060B2E
	v_cmp_eq_u32_e64 s[60:61], v3, 0                           // 000000007EE8: D0CA003C 00010103
	v_cndmask_b32_e64 v4, 1, 0, s[60:61]                       // 000000007EF0: D1000004 00F10081
	v_and_b32_e32 v4, v4, v2                                   // 000000007EF8: 26080504
	v_bfe_u32 v5, v46, 23, 8                                   // 000000007EFC: D1C80005 02212F2E
	v_add_u32_e32 v5, v5, v4                                   // 000000007F04: 680A0905
	v_cmp_u_f32_e64 s[60:61], v46, v46                         // 000000007F08: D048003C 00025D2E
	v_lshlrev_b32_e32 v46, 23, v5                              // 000000007F10: 245C0A97
	v_cndmask_b32_e64 v46, v46, v1, s[60:61]                   // 000000007F14: D100002E 00F2032E
	s_mov_b32 s60, 0xffff                                      // 000000007F1C: BEBC00FF 0000FFFF
	v_cvt_scalef32_pk_fp4_f32 v72, v72, v73, v45               // 000000007F24: D23D0048 04B69348
	v_cvt_scalef32_pk_fp4_f32 v72, v74, v75, v45 op_sel:[0,0,1,0]// 000000007F2C: D23D2048 04B6974A
	v_cvt_scalef32_pk_fp4_f32 v76, v76, v77, v45               // 000000007F34: D23D004C 04B69B4C
	v_cvt_scalef32_pk_fp4_f32 v76, v78, v79, v45 op_sel:[0,0,1,0]// 000000007F3C: D23D204C 04B69F4E
	s_nop 1                                                    // 000000007F44: BF800001
	v_permlane16_swap_b32_e32 v72, v76                         // 000000007F48: 7E90B34C
	s_nop 1                                                    // 000000007F4C: BF800001
	v_and_b32_e64 v72, v72, s60                                // 000000007F50: D1130048 00007948
	v_lshlrev_b32_e32 v76, 16, v76                             // 000000007F58: 24989890
	v_or_b32_e32 v72, v72, v76                                 // 000000007F5C: 28909948
	v_mov_b32_e32 v76, v72                                     // 000000007F60: 7E980348
	s_nop 1                                                    // 000000007F64: BF800001
	v_permlane32_swap_b32_e32 v72, v76                         // 000000007F68: 7E90B54C
	s_nop 1                                                    // 000000007F6C: BF800001
	v_permlane16_swap_b32_e32 v72, v76                         // 000000007F70: 7E90B34C
	s_nop 1                                                    // 000000007F74: BF800001
	v_permlane32_swap_b32_e32 v72, v76                         // 000000007F78: 7E90B54C
	s_nop 1                                                    // 000000007F7C: BF800001
	v_cvt_scalef32_pk_fp4_f32 v104, v104, v105, v46            // 000000007F80: D23D0068 04BAD368
	v_cvt_scalef32_pk_fp4_f32 v104, v106, v107, v46 op_sel:[0,0,1,0]// 000000007F88: D23D2068 04BAD76A
	v_cvt_scalef32_pk_fp4_f32 v108, v108, v109, v46            // 000000007F90: D23D006C 04BADB6C
	v_cvt_scalef32_pk_fp4_f32 v108, v110, v111, v46 op_sel:[0,0,1,0]// 000000007F98: D23D206C 04BADF6E
	s_nop 1                                                    // 000000007FA0: BF800001
	v_permlane16_swap_b32_e32 v104, v108                       // 000000007FA4: 7ED0B36C
	s_nop 1                                                    // 000000007FA8: BF800001
	v_and_b32_e64 v104, v104, s60                              // 000000007FAC: D1130068 00007968
	v_lshlrev_b32_e32 v108, 16, v108                           // 000000007FB4: 24D8D890
	v_or_b32_e32 v104, v104, v108                              // 000000007FB8: 28D0D968
	v_mov_b32_e32 v108, v104                                   // 000000007FBC: 7ED80368
	s_nop 1                                                    // 000000007FC0: BF800001
	v_permlane32_swap_b32_e32 v104, v108                       // 000000007FC4: 7ED0B56C
	s_nop 1                                                    // 000000007FC8: BF800001
	v_permlane16_swap_b32_e32 v104, v108                       // 000000007FCC: 7ED0B36C
	s_nop 1                                                    // 000000007FD0: BF800001
	v_permlane32_swap_b32_e32 v104, v108                       // 000000007FD4: 7ED0B56C
	s_nop 1                                                    // 000000007FD8: BF800001
	v_mov_b32_e32 v47, 0x358637bd                              // 000000007FDC: 7E5E02FF 358637BD
	v_mov_b32_e32 v48, 0x358637bd                              // 000000007FE4: 7E6002FF 358637BD
	v_max3_f32 v47, |v80|, |v81|, v47                          // 000000007FEC: D1D3032F 04BEA350
	v_max3_f32 v47, |v82|, |v83|, v47                          // 000000007FF4: D1D3032F 04BEA752
	v_max3_f32 v47, |v84|, |v85|, v47                          // 000000007FFC: D1D3032F 04BEAB54
	v_max3_f32 v47, |v86|, |v87|, v47                          // 000000008004: D1D3032F 04BEAF56
	v_max3_f32 v48, |v112|, |v113|, v48                        // 00000000800C: D1D30330 04C2E370
	v_max3_f32 v48, |v114|, |v115|, v48                        // 000000008014: D1D30330 04C2E772
	v_max3_f32 v48, |v116|, |v117|, v48                        // 00000000801C: D1D30330 04C2EB74
	v_max3_f32 v48, |v118|, |v119|, v48                        // 000000008024: D1D30330 04C2EF76
	v_mov_b32_e32 v2, v47                                      // 00000000802C: 7E04032F
	s_nop 1                                                    // 000000008030: BF800001
	v_permlane32_swap_b32_e32 v2, v47                          // 000000008034: 7E04B52F
	v_max_f32_e32 v47, v2, v47                                 // 000000008038: 165E5F02
	v_mov_b32_e32 v2, v47                                      // 00000000803C: 7E04032F
	s_nop 1                                                    // 000000008040: BF800001
	v_permlane16_swap_b32_e32 v2, v47                          // 000000008044: 7E04B32F
	v_max_f32_e32 v47, v2, v47                                 // 000000008048: 165E5F02
	v_mov_b32_e32 v2, v48                                      // 00000000804C: 7E040330
	s_nop 1                                                    // 000000008050: BF800001
	v_permlane32_swap_b32_e32 v2, v48                          // 000000008054: 7E04B530
	v_max_f32_e32 v48, v2, v48                                 // 000000008058: 16606102
	v_mov_b32_e32 v2, v48                                      // 00000000805C: 7E040330
	s_nop 1                                                    // 000000008060: BF800001
	v_permlane16_swap_b32_e32 v2, v48                          // 000000008064: 7E04B330
	v_max_f32_e32 v48, v2, v48                                 // 000000008068: 16606102
	v_mov_b32_e32 v2, 0x3e800000                               // 00000000806C: 7E0402FF 3E800000
	v_mul_f32_e32 v47, v2, v47                                 // 000000008074: 0A5E5F02
	v_mul_f32_e32 v48, v2, v48                                 // 000000008078: 0A606102
	v_mov_b32_e32 v1, 0x7fff0000                               // 00000000807C: 7E0202FF 7FFF0000
	v_mov_b32_e32 v5, 0x7fbfffff                               // 000000008084: 7E0A02FF 7FBFFFFF
	v_bfe_u32 v2, v47, 22, 1                                   // 00000000808C: D1C80002 02052D2F
	v_and_b32_e32 v3, v47, v5                                  // 000000008094: 26060B2F
	v_cmp_eq_u32_e64 s[60:61], v3, 0                           // 000000008098: D0CA003C 00010103
	v_cndmask_b32_e64 v4, 1, 0, s[60:61]                       // 0000000080A0: D1000004 00F10081
	v_and_b32_e32 v4, v4, v2                                   // 0000000080A8: 26080504
	v_bfe_u32 v5, v47, 23, 8                                   // 0000000080AC: D1C80005 02212F2F
	v_add_u32_e32 v5, v5, v4                                   // 0000000080B4: 680A0905
	v_cmp_u_f32_e64 s[60:61], v47, v47                         // 0000000080B8: D048003C 00025F2F
	v_lshlrev_b32_e32 v47, 23, v5                              // 0000000080C0: 245E0A97
	v_cndmask_b32_e64 v47, v47, v1, s[60:61]                   // 0000000080C4: D100002F 00F2032F
	v_mov_b32_e32 v5, 0x7fbfffff                               // 0000000080CC: 7E0A02FF 7FBFFFFF
	v_bfe_u32 v2, v48, 22, 1                                   // 0000000080D4: D1C80002 02052D30
	v_and_b32_e32 v3, v48, v5                                  // 0000000080DC: 26060B30
	v_cmp_eq_u32_e64 s[60:61], v3, 0                           // 0000000080E0: D0CA003C 00010103
	v_cndmask_b32_e64 v4, 1, 0, s[60:61]                       // 0000000080E8: D1000004 00F10081
	v_and_b32_e32 v4, v4, v2                                   // 0000000080F0: 26080504
	v_bfe_u32 v5, v48, 23, 8                                   // 0000000080F4: D1C80005 02212F30
	v_add_u32_e32 v5, v5, v4                                   // 0000000080FC: 680A0905
	v_cmp_u_f32_e64 s[60:61], v48, v48                         // 000000008100: D048003C 00026130
	v_lshlrev_b32_e32 v48, 23, v5                              // 000000008108: 24600A97
	v_cndmask_b32_e64 v48, v48, v1, s[60:61]                   // 00000000810C: D1000030 00F20330
	s_mov_b32 s60, 0xffff                                      // 000000008114: BEBC00FF 0000FFFF
	v_cvt_scalef32_pk_fp4_f32 v80, v80, v81, v47               // 00000000811C: D23D0050 04BEA350
	v_cvt_scalef32_pk_fp4_f32 v80, v82, v83, v47 op_sel:[0,0,1,0]// 000000008124: D23D2050 04BEA752
	v_cvt_scalef32_pk_fp4_f32 v84, v84, v85, v47               // 00000000812C: D23D0054 04BEAB54
	v_cvt_scalef32_pk_fp4_f32 v84, v86, v87, v47 op_sel:[0,0,1,0]// 000000008134: D23D2054 04BEAF56
	s_nop 1                                                    // 00000000813C: BF800001
	v_permlane16_swap_b32_e32 v80, v84                         // 000000008140: 7EA0B354
	s_nop 1                                                    // 000000008144: BF800001
	v_and_b32_e64 v80, v80, s60                                // 000000008148: D1130050 00007950
	v_lshlrev_b32_e32 v84, 16, v84                             // 000000008150: 24A8A890
	v_or_b32_e32 v80, v80, v84                                 // 000000008154: 28A0A950
	v_mov_b32_e32 v84, v80                                     // 000000008158: 7EA80350
	s_nop 1                                                    // 00000000815C: BF800001
	v_permlane32_swap_b32_e32 v80, v84                         // 000000008160: 7EA0B554
	s_nop 1                                                    // 000000008164: BF800001
	v_permlane16_swap_b32_e32 v80, v84                         // 000000008168: 7EA0B354
	s_nop 1                                                    // 00000000816C: BF800001
	v_permlane32_swap_b32_e32 v80, v84                         // 000000008170: 7EA0B554
	s_nop 1                                                    // 000000008174: BF800001
	v_cvt_scalef32_pk_fp4_f32 v112, v112, v113, v48            // 000000008178: D23D0070 04C2E370
	v_cvt_scalef32_pk_fp4_f32 v112, v114, v115, v48 op_sel:[0,0,1,0]// 000000008180: D23D2070 04C2E772
	v_cvt_scalef32_pk_fp4_f32 v116, v116, v117, v48            // 000000008188: D23D0074 04C2EB74
	v_cvt_scalef32_pk_fp4_f32 v116, v118, v119, v48 op_sel:[0,0,1,0]// 000000008190: D23D2074 04C2EF76
	s_nop 1                                                    // 000000008198: BF800001
	v_permlane16_swap_b32_e32 v112, v116                       // 00000000819C: 7EE0B374
	s_nop 1                                                    // 0000000081A0: BF800001
	v_and_b32_e64 v112, v112, s60                              // 0000000081A4: D1130070 00007970
	v_lshlrev_b32_e32 v116, 16, v116                           // 0000000081AC: 24E8E890
	v_or_b32_e32 v112, v112, v116                              // 0000000081B0: 28E0E970
	v_mov_b32_e32 v116, v112                                   // 0000000081B4: 7EE80370
	s_nop 1                                                    // 0000000081B8: BF800001
	v_permlane32_swap_b32_e32 v112, v116                       // 0000000081BC: 7EE0B574
	s_nop 1                                                    // 0000000081C0: BF800001
	v_permlane16_swap_b32_e32 v112, v116                       // 0000000081C4: 7EE0B374
	s_nop 1                                                    // 0000000081C8: BF800001
	v_permlane32_swap_b32_e32 v112, v116                       // 0000000081CC: 7EE0B574
	s_nop 1                                                    // 0000000081D0: BF800001
	v_mov_b32_e32 v49, 0x358637bd                              // 0000000081D4: 7E6202FF 358637BD
	v_mov_b32_e32 v50, 0x358637bd                              // 0000000081DC: 7E6402FF 358637BD
	v_max3_f32 v49, |v88|, |v89|, v49                          // 0000000081E4: D1D30331 04C6B358
	v_max3_f32 v49, |v90|, |v91|, v49                          // 0000000081EC: D1D30331 04C6B75A
	v_max3_f32 v49, |v92|, |v93|, v49                          // 0000000081F4: D1D30331 04C6BB5C
	v_max3_f32 v49, |v94|, |v95|, v49                          // 0000000081FC: D1D30331 04C6BF5E
	v_max3_f32 v50, |v120|, |v121|, v50                        // 000000008204: D1D30332 04CAF378
	v_max3_f32 v50, |v122|, |v123|, v50                        // 00000000820C: D1D30332 04CAF77A
	v_max3_f32 v50, |v124|, |v125|, v50                        // 000000008214: D1D30332 04CAFB7C
	v_max3_f32 v50, |v126|, |v127|, v50                        // 00000000821C: D1D30332 04CAFF7E
	v_mov_b32_e32 v2, v49                                      // 000000008224: 7E040331
	s_nop 1                                                    // 000000008228: BF800001
	v_permlane32_swap_b32_e32 v2, v49                          // 00000000822C: 7E04B531
	v_max_f32_e32 v49, v2, v49                                 // 000000008230: 16626302
	v_mov_b32_e32 v2, v49                                      // 000000008234: 7E040331
	s_nop 1                                                    // 000000008238: BF800001
	v_permlane16_swap_b32_e32 v2, v49                          // 00000000823C: 7E04B331
	v_max_f32_e32 v49, v2, v49                                 // 000000008240: 16626302
	v_mov_b32_e32 v2, v50                                      // 000000008244: 7E040332
	s_nop 1                                                    // 000000008248: BF800001
	v_permlane32_swap_b32_e32 v2, v50                          // 00000000824C: 7E04B532
	v_max_f32_e32 v50, v2, v50                                 // 000000008250: 16646502
	v_mov_b32_e32 v2, v50                                      // 000000008254: 7E040332
	s_nop 1                                                    // 000000008258: BF800001
	v_permlane16_swap_b32_e32 v2, v50                          // 00000000825C: 7E04B332
	v_max_f32_e32 v50, v2, v50                                 // 000000008260: 16646502
	v_mov_b32_e32 v2, 0x3e800000                               // 000000008264: 7E0402FF 3E800000
	v_mul_f32_e32 v49, v2, v49                                 // 00000000826C: 0A626302
	v_mul_f32_e32 v50, v2, v50                                 // 000000008270: 0A646502
	v_mov_b32_e32 v1, 0x7fff0000                               // 000000008274: 7E0202FF 7FFF0000
	v_mov_b32_e32 v5, 0x7fbfffff                               // 00000000827C: 7E0A02FF 7FBFFFFF
	v_bfe_u32 v2, v49, 22, 1                                   // 000000008284: D1C80002 02052D31
	v_and_b32_e32 v3, v49, v5                                  // 00000000828C: 26060B31
	v_cmp_eq_u32_e64 s[60:61], v3, 0                           // 000000008290: D0CA003C 00010103
	v_cndmask_b32_e64 v4, 1, 0, s[60:61]                       // 000000008298: D1000004 00F10081
	v_and_b32_e32 v4, v4, v2                                   // 0000000082A0: 26080504
	v_bfe_u32 v5, v49, 23, 8                                   // 0000000082A4: D1C80005 02212F31
	v_add_u32_e32 v5, v5, v4                                   // 0000000082AC: 680A0905
	v_cmp_u_f32_e64 s[60:61], v49, v49                         // 0000000082B0: D048003C 00026331
	v_lshlrev_b32_e32 v49, 23, v5                              // 0000000082B8: 24620A97
	v_cndmask_b32_e64 v49, v49, v1, s[60:61]                   // 0000000082BC: D1000031 00F20331
	v_mov_b32_e32 v5, 0x7fbfffff                               // 0000000082C4: 7E0A02FF 7FBFFFFF
	v_bfe_u32 v2, v50, 22, 1                                   // 0000000082CC: D1C80002 02052D32
	v_and_b32_e32 v3, v50, v5                                  // 0000000082D4: 26060B32
	v_cmp_eq_u32_e64 s[60:61], v3, 0                           // 0000000082D8: D0CA003C 00010103
	v_cndmask_b32_e64 v4, 1, 0, s[60:61]                       // 0000000082E0: D1000004 00F10081
	v_and_b32_e32 v4, v4, v2                                   // 0000000082E8: 26080504
	v_bfe_u32 v5, v50, 23, 8                                   // 0000000082EC: D1C80005 02212F32
	v_add_u32_e32 v5, v5, v4                                   // 0000000082F4: 680A0905
	v_cmp_u_f32_e64 s[60:61], v50, v50                         // 0000000082F8: D048003C 00026532
	v_lshlrev_b32_e32 v50, 23, v5                              // 000000008300: 24640A97
	v_cndmask_b32_e64 v50, v50, v1, s[60:61]                   // 000000008304: D1000032 00F20332
	s_mov_b32 s60, 0xffff                                      // 00000000830C: BEBC00FF 0000FFFF
	v_cvt_scalef32_pk_fp4_f32 v88, v88, v89, v49               // 000000008314: D23D0058 04C6B358
	v_cvt_scalef32_pk_fp4_f32 v88, v90, v91, v49 op_sel:[0,0,1,0]// 00000000831C: D23D2058 04C6B75A
	v_cvt_scalef32_pk_fp4_f32 v92, v92, v93, v49               // 000000008324: D23D005C 04C6BB5C
	v_cvt_scalef32_pk_fp4_f32 v92, v94, v95, v49 op_sel:[0,0,1,0]// 00000000832C: D23D205C 04C6BF5E
	s_nop 1                                                    // 000000008334: BF800001
	v_permlane16_swap_b32_e32 v88, v92                         // 000000008338: 7EB0B35C
	s_nop 1                                                    // 00000000833C: BF800001
	v_and_b32_e64 v88, v88, s60                                // 000000008340: D1130058 00007958
	v_lshlrev_b32_e32 v92, 16, v92                             // 000000008348: 24B8B890
	v_or_b32_e32 v88, v88, v92                                 // 00000000834C: 28B0B958
	v_mov_b32_e32 v92, v88                                     // 000000008350: 7EB80358
	s_nop 1                                                    // 000000008354: BF800001
	v_permlane32_swap_b32_e32 v88, v92                         // 000000008358: 7EB0B55C
	s_nop 1                                                    // 00000000835C: BF800001
	v_permlane16_swap_b32_e32 v88, v92                         // 000000008360: 7EB0B35C
	s_nop 1                                                    // 000000008364: BF800001
	v_permlane32_swap_b32_e32 v88, v92                         // 000000008368: 7EB0B55C
	s_nop 1                                                    // 00000000836C: BF800001
	v_cvt_scalef32_pk_fp4_f32 v120, v120, v121, v50            // 000000008370: D23D0078 04CAF378
	v_cvt_scalef32_pk_fp4_f32 v120, v122, v123, v50 op_sel:[0,0,1,0]// 000000008378: D23D2078 04CAF77A
	v_cvt_scalef32_pk_fp4_f32 v124, v124, v125, v50            // 000000008380: D23D007C 04CAFB7C
	v_cvt_scalef32_pk_fp4_f32 v124, v126, v127, v50 op_sel:[0,0,1,0]// 000000008388: D23D207C 04CAFF7E
	s_nop 1                                                    // 000000008390: BF800001
	v_permlane16_swap_b32_e32 v120, v124                       // 000000008394: 7EF0B37C
	s_nop 1                                                    // 000000008398: BF800001
	v_and_b32_e64 v120, v120, s60                              // 00000000839C: D1130078 00007978
	v_lshlrev_b32_e32 v124, 16, v124                           // 0000000083A4: 24F8F890
	v_or_b32_e32 v120, v120, v124                              // 0000000083A8: 28F0F978
	v_mov_b32_e32 v124, v120                                   // 0000000083AC: 7EF80378
	s_nop 1                                                    // 0000000083B0: BF800001
	v_permlane32_swap_b32_e32 v120, v124                       // 0000000083B4: 7EF0B57C
	s_nop 1                                                    // 0000000083B8: BF800001
	v_permlane16_swap_b32_e32 v120, v124                       // 0000000083BC: 7EF0B37C
	s_nop 1                                                    // 0000000083C0: BF800001
	v_permlane32_swap_b32_e32 v120, v124                       // 0000000083C4: 7EF0B57C
	s_nop 1                                                    // 0000000083C8: BF800001
	v_lshrrev_b32_e32 v2, 5, v0                                // 0000000083CC: 20040085
	v_lshlrev_b32_e32 v3, 6, v2                                // 0000000083D0: 24060486
	v_and_b32_e32 v2, 31, v0                                   // 0000000083D4: 2604009F
	v_lshrrev_b32_e32 v4, 4, v2                                // 0000000083D8: 20080484
	v_add_u32_e32 v3, v4, v3                                   // 0000000083DC: 68060704
	v_and_b32_e32 v2, 15, v0                                   // 0000000083E0: 2604008F
	v_lshlrev_b32_e32 v2, 1, v2                                // 0000000083E4: 24040481
	v_add_u32_e32 v3, v2, v3                                   // 0000000083E8: 68060702
	v_lshlrev_b32_e32 v2, 2, v3                                // 0000000083EC: 24040682
	s_mov_b32 s60, 0                                           // 0000000083F0: BEBC0080
	s_lshr_b32 s61, s7, 1                                      // 0000000083F4: 8F3D8107
	s_mul_i32 s61, s61, 0x200                                  // 0000000083F8: 923DFF3D 00000200
	s_add_u32 s60, s61, s60                                    // 000000008400: 803C3C3D
	s_and_b32 s61, s7, 1                                       // 000000008404: 863D8107
	s_mul_i32 s61, s61, 0x80                                   // 000000008408: 923DFF3D 00000080
	s_add_u32 s60, s61, s60                                    // 000000008410: 803C3C3D
	v_add_u32_e64 v2, v2, s60                                  // 000000008414: D1340002 00007902
	ds_write_b32 v2, v64                                       // 00000000841C: D81A0000 00004002
	ds_write_b32 v2, v72 offset:1024                           // 000000008424: D81A0400 00004802
	ds_write_b32 v2, v80 offset:2048                           // 00000000842C: D81A0800 00005002
	ds_write_b32 v2, v88 offset:3072                           // 000000008434: D81A0C00 00005802
	ds_write_b32 v2, v96 offset:4096                           // 00000000843C: D81A1000 00006002
	ds_write_b32 v2, v104 offset:5120                          // 000000008444: D81A1400 00006802
	ds_write_b32 v2, v112 offset:6144                          // 00000000844C: D81A1800 00007002
	ds_write_b32 v2, v120 offset:7168                          // 000000008454: D81A1C00 00007802
	s_waitcnt lgkmcnt(0)                                       // 00000000845C: BF8CC07F
	s_barrier                                                  // 000000008460: BF8A0000
	v_and_b32_e32 v2, 31, v0                                   // 000000008464: 2604009F
	v_lshrrev_b32_e32 v2, 4, v2                                // 000000008468: 20040484
	v_lshlrev_b32_e32 v3, 5, v2                                // 00000000846C: 24060485
	v_lshrrev_b32_e32 v2, 5, v0                                // 000000008470: 20040085
	v_lshlrev_b32_e32 v2, 7, v2                                // 000000008474: 24040487
	v_add_u32_e32 v3, v2, v3                                   // 000000008478: 68060702
	v_and_b32_e32 v2, 15, v0                                   // 00000000847C: 2604008F
	v_lshlrev_b32_e32 v2, 1, v2                                // 000000008480: 24040481
	v_add_u32_e32 v3, v2, v3                                   // 000000008484: 68060702
	v_lshlrev_b32_e32 v2, 2, v3                                // 000000008488: 24040682
	ds_read_b64 v[64:65], v2                                   // 00000000848C: D8EC0000 40000002
	ds_read_b64 v[66:67], v2 offset:256                        // 000000008494: D8EC0100 42000002
	ds_read_b64 v[68:69], v2 offset:1024                       // 00000000849C: D8EC0400 44000002
	ds_read_b64 v[70:71], v2 offset:1280                       // 0000000084A4: D8EC0500 46000002
	ds_read_b64 v[72:73], v2 offset:2048                       // 0000000084AC: D8EC0800 48000002
	ds_read_b64 v[74:75], v2 offset:2304                       // 0000000084B4: D8EC0900 4A000002
	ds_read_b64 v[76:77], v2 offset:3072                       // 0000000084BC: D8EC0C00 4C000002
	ds_read_b64 v[78:79], v2 offset:3328                       // 0000000084C4: D8EC0D00 4E000002
	ds_read_b64 v[80:81], v2 offset:4096                       // 0000000084CC: D8EC1000 50000002
	ds_read_b64 v[82:83], v2 offset:4352                       // 0000000084D4: D8EC1100 52000002
	ds_read_b64 v[84:85], v2 offset:5120                       // 0000000084DC: D8EC1400 54000002
	ds_read_b64 v[86:87], v2 offset:5376                       // 0000000084E4: D8EC1500 56000002
	ds_read_b64 v[88:89], v2 offset:6144                       // 0000000084EC: D8EC1800 58000002
	ds_read_b64 v[90:91], v2 offset:6400                       // 0000000084F4: D8EC1900 5A000002
	ds_read_b64 v[92:93], v2 offset:7168                       // 0000000084FC: D8EC1C00 5C000002
	ds_read_b64 v[94:95], v2 offset:7424                       // 000000008504: D8EC1D00 5E000002
	s_waitcnt lgkmcnt(0)                                       // 00000000850C: BF8CC07F
	s_barrier                                                  // 000000008510: BF8A0000
	v_lshrrev_b32_e32 v2, 5, v0                                // 000000008514: 20040085
	v_lshlrev_b32_e32 v3, 6, v2                                // 000000008518: 24060486
	v_and_b32_e32 v2, 31, v0                                   // 00000000851C: 2604009F
	v_lshrrev_b32_e32 v4, 4, v2                                // 000000008520: 20080484
	v_add_u32_e32 v3, v4, v3                                   // 000000008524: 68060704
	v_and_b32_e32 v2, 15, v0                                   // 000000008528: 2604008F
	v_lshlrev_b32_e32 v2, 1, v2                                // 00000000852C: 24040481
	v_add_u32_e32 v3, v2, v3                                   // 000000008530: 68060702
	v_lshlrev_b32_e32 v2, 2, v3                                // 000000008534: 24040682
	s_mov_b32 s60, 0                                           // 000000008538: BEBC0080
	s_lshr_b32 s61, s7, 1                                      // 00000000853C: 8F3D8107
	s_mul_i32 s61, s61, 0x200                                  // 000000008540: 923DFF3D 00000200
	s_add_u32 s60, s61, s60                                    // 000000008548: 803C3C3D
	s_and_b32 s61, s7, 1                                       // 00000000854C: 863D8107
	s_mul_i32 s61, s61, 0x80                                   // 000000008550: 923DFF3D 00000080
	s_add_u32 s60, s61, s60                                    // 000000008558: 803C3C3D
	v_add_u32_e64 v2, v2, s60                                  // 00000000855C: D1340002 00007902
	ds_write_b32 v2, v43                                       // 000000008564: D81A0000 00002B02
	ds_write_b32 v2, v45 offset:1024                           // 00000000856C: D81A0400 00002D02
	ds_write_b32 v2, v47 offset:2048                           // 000000008574: D81A0800 00002F02
	ds_write_b32 v2, v49 offset:3072                           // 00000000857C: D81A0C00 00003102
	ds_write_b32 v2, v44 offset:4096                           // 000000008584: D81A1000 00002C02
	ds_write_b32 v2, v46 offset:5120                           // 00000000858C: D81A1400 00002E02
	ds_write_b32 v2, v48 offset:6144                           // 000000008594: D81A1800 00003002
	ds_write_b32 v2, v50 offset:7168                           // 00000000859C: D81A1C00 00003202
	s_waitcnt lgkmcnt(0)                                       // 0000000085A4: BF8CC07F
	s_barrier                                                  // 0000000085A8: BF8A0000
	v_and_b32_e32 v2, 31, v0                                   // 0000000085AC: 2604009F
	v_lshrrev_b32_e32 v2, 4, v2                                // 0000000085B0: 20040484
	v_lshlrev_b32_e32 v3, 5, v2                                // 0000000085B4: 24060485
	v_lshrrev_b32_e32 v2, 5, v0                                // 0000000085B8: 20040085
	v_lshlrev_b32_e32 v2, 7, v2                                // 0000000085BC: 24040487
	v_add_u32_e32 v3, v2, v3                                   // 0000000085C0: 68060702
	v_and_b32_e32 v2, 15, v0                                   // 0000000085C4: 2604008F
	v_lshlrev_b32_e32 v2, 1, v2                                // 0000000085C8: 24040481
	v_add_u32_e32 v3, v2, v3                                   // 0000000085CC: 68060702
	v_lshlrev_b32_e32 v2, 2, v3                                // 0000000085D0: 24040682
	ds_read_b32 v43, v2                                        // 0000000085D4: D86C0000 2B000002
	ds_read_b32 v45, v2 offset:1024                            // 0000000085DC: D86C0400 2D000002
	ds_read_b32 v47, v2 offset:2048                            // 0000000085E4: D86C0800 2F000002
	ds_read_b32 v49, v2 offset:3072                            // 0000000085EC: D86C0C00 31000002
	ds_read_b32 v44, v2 offset:4096                            // 0000000085F4: D86C1000 2C000002
	ds_read_b32 v46, v2 offset:5120                            // 0000000085FC: D86C1400 2E000002
	ds_read_b32 v48, v2 offset:6144                            // 000000008604: D86C1800 30000002
	ds_read_b32 v50, v2 offset:7168                            // 00000000860C: D86C1C00 32000002
	s_waitcnt lgkmcnt(0)                                       // 000000008614: BF8CC07F
	s_barrier                                                  // 000000008618: BF8A0000
	v_bfe_u32 v43, v43, 23, 8                                  // 00000000861C: D1C8002B 02212F2B
	v_bfe_u32 v44, v44, 23, 8                                  // 000000008624: D1C8002C 02212F2C
	v_bfe_u32 v45, v45, 23, 8                                  // 00000000862C: D1C8002D 02212F2D
	v_bfe_u32 v46, v46, 23, 8                                  // 000000008634: D1C8002E 02212F2E
	v_bfe_u32 v47, v47, 23, 8                                  // 00000000863C: D1C8002F 02212F2F
	v_bfe_u32 v48, v48, 23, 8                                  // 000000008644: D1C80030 02212F30
	v_bfe_u32 v49, v49, 23, 8                                  // 00000000864C: D1C80031 02212F31
	v_bfe_u32 v50, v50, 23, 8                                  // 000000008654: D1C80032 02212F32
	v_mov_b32_e32 v2, 0                                        // 00000000865C: 7E040280
	v_lshlrev_b32_e32 v43, 0, v43                              // 000000008660: 24565680
	v_or_b32_e32 v2, v2, v43                                   // 000000008664: 28045702
	v_lshlrev_b32_e32 v44, 8, v44                              // 000000008668: 24585888
	v_or_b32_e32 v2, v2, v44                                   // 00000000866C: 28045902
	v_lshlrev_b32_e32 v45, 16, v45                             // 000000008670: 245A5A90
	v_or_b32_e32 v2, v2, v45                                   // 000000008674: 28045B02
	v_lshlrev_b32_e32 v46, 24, v46                             // 000000008678: 245C5C98
	v_or_b32_e32 v2, v2, v46                                   // 00000000867C: 28045D02
	v_mov_b32_e32 v43, v2                                      // 000000008680: 7E560302
	v_mov_b32_e32 v2, 0                                        // 000000008684: 7E040280
	v_lshlrev_b32_e32 v47, 0, v47                              // 000000008688: 245E5E80
	v_or_b32_e32 v2, v2, v47                                   // 00000000868C: 28045F02
	v_lshlrev_b32_e32 v48, 8, v48                              // 000000008690: 24606088
	v_or_b32_e32 v2, v2, v48                                   // 000000008694: 28046102
	v_lshlrev_b32_e32 v49, 16, v49                             // 000000008698: 24626290
	v_or_b32_e32 v2, v2, v49                                   // 00000000869C: 28046302
	v_lshlrev_b32_e32 v50, 24, v50                             // 0000000086A0: 24646498
	v_or_b32_e32 v2, v2, v50                                   // 0000000086A4: 28046502
	v_mov_b32_e32 v44, v2                                      // 0000000086A8: 7E580302
	s_add_u32 s12, s56, s12                                    // 0000000086AC: 800C0C38
	s_addc_u32 s13, 0, s13                                     // 0000000086B0: 820D0D80
	s_add_u32 s16, s79, s16                                    // 0000000086B4: 8010104F
	s_addc_u32 s17, 0, s17                                     // 0000000086B8: 82111180
	s_waitcnt lgkmcnt(0)                                       // 0000000086BC: BF8CC07F
	s_barrier                                                  // 0000000086C0: BF8A0000
	v_mov_b32_e32 v160, 0                                      // 0000000086C4: 7F400280
	v_mov_b32_e32 v192, 0                                      // 0000000086C8: 7F800280
	v_mov_b32_e32 v161, 0                                      // 0000000086CC: 7F420280
	v_mov_b32_e32 v193, 0                                      // 0000000086D0: 7F820280
	v_mov_b32_e32 v162, 0                                      // 0000000086D4: 7F440280
	v_mov_b32_e32 v194, 0                                      // 0000000086D8: 7F840280
	v_mov_b32_e32 v163, 0                                      // 0000000086DC: 7F460280
	v_mov_b32_e32 v195, 0                                      // 0000000086E0: 7F860280
	v_mov_b32_e32 v164, 0                                      // 0000000086E4: 7F480280
	v_mov_b32_e32 v196, 0                                      // 0000000086E8: 7F880280
	v_mov_b32_e32 v165, 0                                      // 0000000086EC: 7F4A0280
	v_mov_b32_e32 v197, 0                                      // 0000000086F0: 7F8A0280
	v_mov_b32_e32 v166, 0                                      // 0000000086F4: 7F4C0280
	v_mov_b32_e32 v198, 0                                      // 0000000086F8: 7F8C0280
	v_mov_b32_e32 v167, 0                                      // 0000000086FC: 7F4E0280
	v_mov_b32_e32 v199, 0                                      // 000000008700: 7F8E0280
	v_mov_b32_e32 v168, 0                                      // 000000008704: 7F500280
	v_mov_b32_e32 v200, 0                                      // 000000008708: 7F900280
	v_mov_b32_e32 v169, 0                                      // 00000000870C: 7F520280
	v_mov_b32_e32 v201, 0                                      // 000000008710: 7F920280
	v_mov_b32_e32 v170, 0                                      // 000000008714: 7F540280
	v_mov_b32_e32 v202, 0                                      // 000000008718: 7F940280
	v_mov_b32_e32 v171, 0                                      // 00000000871C: 7F560280
	v_mov_b32_e32 v203, 0                                      // 000000008720: 7F960280
	v_mov_b32_e32 v172, 0                                      // 000000008724: 7F580280
	v_mov_b32_e32 v204, 0                                      // 000000008728: 7F980280
	v_mov_b32_e32 v173, 0                                      // 00000000872C: 7F5A0280
	v_mov_b32_e32 v205, 0                                      // 000000008730: 7F9A0280
	v_mov_b32_e32 v174, 0                                      // 000000008734: 7F5C0280
	v_mov_b32_e32 v206, 0                                      // 000000008738: 7F9C0280
	v_mov_b32_e32 v175, 0                                      // 00000000873C: 7F5E0280
	v_mov_b32_e32 v207, 0                                      // 000000008740: 7F9E0280
	ds_write_b64 v8, v[160:161]                                // 000000008744: D89A0000 0000A008
	ds_write_b64 v8, v[162:163] offset:8704                    // 00000000874C: D89A2200 0000A208
	ds_write_b64 v8, v[164:165] offset:544                     // 000000008754: D89A0220 0000A408
	ds_write_b64 v8, v[166:167] offset:9248                    // 00000000875C: D89A2420 0000A608
	ds_write_b64 v8, v[168:169] offset:4352                    // 000000008764: D89A1100 0000A808
	ds_write_b64 v8, v[170:171] offset:13056                   // 00000000876C: D89A3300 0000AA08
	ds_write_b64 v8, v[172:173] offset:4896                    // 000000008774: D89A1320 0000AC08
	ds_write_b64 v8, v[174:175] offset:13600                   // 00000000877C: D89A3520 0000AE08
	s_mov_b32 s80, 0                                           // 000000008784: BED00080
	s_waitcnt vmcnt(0) expcnt(0) lgkmcnt(0)                    // 000000008788: BF8C0000

000000000000878c <label_1663>:
	s_waitcnt vmcnt(30) lgkmcnt(0)                             // 00000000878C: BF8C407E
	s_barrier                                                  // 000000008790: BF8A0000
	v_mfma_scale_f32_16x16x128_f8f6f4 v[160:163], a[0:3], v[64:67], 0, v25, v43 op_sel_hi:[0,0,0] cbsz:4 blgp:4// 000000008794: D3AC6000 00025719 D3AD0CA0 8A028100
	buffer_load_dwordx4 a[64:67], v60, s[12:15], 0 offen       // 0000000087A4: E05C1000 8083403C
	v_mfma_scale_f32_16x16x128_f8f6f4 v[164:167], a[0:3], v[80:83], 0, v25, v43 op_sel_hi:[0,0,0] cbsz:4 blgp:4// 0000000087AC: D3AC3000 00025719 D3AD0CA4 8A02A100
	ds_read_b32 v128, v9                                       // 0000000087BC: D86C0000 80000009
	ds_read_b32 v129, v9 offset:4352                           // 0000000087C4: D86C1100 81000009
	ds_read_b32 v130, v9 offset:8                              // 0000000087CC: D86C0008 82000009
	ds_read_b32 v131, v9 offset:4360                           // 0000000087D4: D86C1108 83000009
	v_mfma_scale_f32_16x16x128_f8f6f4 v[168:171], a[4:7], v[64:67], 0, v25, v43 op_sel_hi:[0,0,0] cbsz:4 blgp:4// 0000000087DC: D3AC6800 00025719 D3AD0CA8 8A028104
	buffer_load_dwordx4 a[68:71], v61, s[12:15], 0 offen       // 0000000087EC: E05C1000 8083443D
	buffer_load_dword v29, v10, s[16:19], 0 offen              // 0000000087F4: E0501000 80041D0A
	buffer_load_dword v30, v11, s[16:19], 0 offen              // 0000000087FC: E0501000 80041E0B
	buffer_load_dword v31, v10, s[16:19], 0 offen offset:256   // 000000008804: E0501100 80041F0A
	buffer_load_dword v32, v11, s[16:19], 0 offen offset:256   // 00000000880C: E0501100 8004200B
	v_mfma_scale_f32_16x16x128_f8f6f4 v[172:175], a[4:7], v[80:83], 0, v25, v43 op_sel_hi:[0,0,0] cbsz:4 blgp:4// 000000008814: D3AC7800 00025719 D3AD0CAC 8A02A104
	ds_read_b32 v132, v9 offset:32                             // 000000008824: D86C0020 84000009
	ds_read_b32 v133, v9 offset:4384                           // 00000000882C: D86C1120 85000009
	ds_read_b32 v134, v9 offset:40                             // 000000008834: D86C0028 86000009
	ds_read_b32 v135, v9 offset:4392                           // 00000000883C: D86C1128 87000009
	s_waitcnt vmcnt(34)                                        // 000000008844: BF8C8F72
	v_mfma_scale_f32_16x16x128_f8f6f4 v[176:179], a[8:11], v[64:67], 0, v26, v43 op_sel_hi:[0,0,0] cbsz:4 blgp:4// 000000008848: D3AC6000 0002571A D3AD0CB0 8A028108
	buffer_load_dwordx4 a[72:75], v62, s[12:15], 0 offen       // 000000008858: E05C1000 8083483E
	v_mfma_scale_f32_16x16x128_f8f6f4 v[180:183], a[8:11], v[80:83], 0, v26, v43 op_sel_hi:[0,0,0] cbsz:4 blgp:4// 000000008860: D3AC7000 0002571A D3AD0CB4 8A02A108
	ds_read_b32 v136, v9 offset:8704                           // 000000008870: D86C2200 88000009
	ds_read_b32 v137, v9 offset:13056                          // 000000008878: D86C3300 89000009
	ds_read_b32 v138, v9 offset:8712                           // 000000008880: D86C2208 8A000009
	ds_read_b32 v139, v9 offset:13064                          // 000000008888: D86C3308 8B000009
	v_mfma_scale_f32_16x16x128_f8f6f4 v[184:187], a[12:15], v[64:67], 0, v26, v43 op_sel_hi:[0,0,0] cbsz:4 blgp:4// 000000008890: D3AC6800 0002571A D3AD0CB8 8A02810C
	buffer_load_dwordx4 a[76:79], v63, s[12:15], 0 offen       // 0000000088A0: E05C1000 80834C3F
	buffer_load_dword v31, v10, s[16:19], 0 offen offset:256   // 0000000088A8: E0501100 80041F0A
	buffer_load_dword v32, v11, s[16:19], 0 offen offset:256   // 0000000088B0: E0501100 8004200B
	v_mfma_scale_f32_16x16x128_f8f6f4 v[188:191], a[12:15], v[80:83], 0, v26, v43 op_sel_hi:[0,0,0] cbsz:4 blgp:4// 0000000088B8: D3AC7800 0002571A D3AD0CBC 8A02A10C
	ds_read_b32 v140, v9 offset:8736                           // 0000000088C8: D86C2220 8C000009
	ds_read_b32 v141, v9 offset:13088                          // 0000000088D0: D86C3320 8D000009
	ds_read_b32 v142, v9 offset:8744                           // 0000000088D8: D86C2228 8E000009
	ds_read_b32 v143, v9 offset:13096                          // 0000000088E0: D86C3328 8F000009
	s_waitcnt vmcnt(34)                                        // 0000000088E8: BF8C8F72
	v_mfma_scale_f32_16x16x128_f8f6f4 v[160:163], a[16:19], v[68:71], v[160:163], v25, v43 op_sel_hi:[0,0,0] cbsz:4 blgp:4// 0000000088EC: D3AC6000 18025719 D3AD0CA0 8E828910
	buffer_load_dwordx4 a[80:83], v60, s[12:15], 0 offen offset:1024// 0000000088FC: E05C1400 8083503C
	v_mfma_scale_f32_16x16x128_f8f6f4 v[164:167], a[16:19], v[84:87], v[164:167], v25, v43 op_sel_hi:[0,0,0] cbsz:4 blgp:4// 000000008904: D3AC7000 18025719 D3AD0CA4 8E92A910
	ds_write_b64 v8, v[192:193] offset:17408                   // 000000008914: D89A4400 0000C008
	ds_write_b64 v8, v[194:195] offset:26112                   // 00000000891C: D89A6600 0000C208
	v_mfma_scale_f32_16x16x128_f8f6f4 v[168:171], a[20:23], v[68:71], v[168:171], v25, v43 op_sel_hi:[0,0,0] cbsz:4 blgp:4// 000000008924: D3AC6800 18025719 D3AD0CA8 8EA28914
	buffer_load_dwordx4 a[84:87], v61, s[12:15], 0 offen offset:1024// 000000008934: E05C1400 8083543D
	v_mfma_scale_f32_16x16x128_f8f6f4 v[172:175], a[20:23], v[84:87], v[172:175], v25, v43 op_sel_hi:[0,0,0] cbsz:4 blgp:4// 00000000893C: D3AC7800 18025719 D3AD0CAC 8EB2A914
	ds_write_b64 v8, v[196:197] offset:17952                   // 00000000894C: D89A4620 0000C408
	ds_write_b64 v8, v[198:199] offset:26656                   // 000000008954: D89A6820 0000C608
	s_waitcnt vmcnt(34)                                        // 00000000895C: BF8C8F72
	v_mfma_scale_f32_16x16x128_f8f6f4 v[176:179], a[24:27], v[68:71], v[176:179], v26, v43 op_sel_hi:[0,0,0] cbsz:4 blgp:4// 000000008960: D3AC6000 1802571A D3AD0CB0 8EC28918
	buffer_load_dwordx4 a[88:91], v62, s[12:15], 0 offen offset:1024// 000000008970: E05C1400 8083583E
	v_mfma_scale_f32_16x16x128_f8f6f4 v[180:183], a[24:27], v[84:87], v[180:183], v26, v43 op_sel_hi:[0,0,0] cbsz:4 blgp:4// 000000008978: D3AC7000 1802571A D3AD0CB4 8ED2A918
	ds_write_b64 v8, v[200:201] offset:21760                   // 000000008988: D89A5500 0000C808
	ds_write_b64 v8, v[202:203] offset:30464                   // 000000008990: D89A7700 0000CA08
	v_mfma_scale_f32_16x16x128_f8f6f4 v[184:187], a[28:31], v[68:71], v[184:187], v26, v43 op_sel_hi:[0,0,0] cbsz:4 blgp:4// 000000008998: D3AC6800 1802571A D3AD0CB8 8EE2891C
	buffer_load_dwordx4 a[92:95], v63, s[12:15], 0 offen offset:1024// 0000000089A8: E05C1400 80835C3F
	v_mfma_scale_f32_16x16x128_f8f6f4 v[188:191], a[28:31], v[84:87], v[188:191], v26, v43 op_sel_hi:[0,0,0] cbsz:4 blgp:4// 0000000089B0: D3AC7800 1802571A D3AD0CBC 8EF2A91C
	ds_write_b64 v8, v[204:205] offset:22304                   // 0000000089C0: D89A5720 0000CC08
	ds_write_b64 v8, v[206:207] offset:31008                   // 0000000089C8: D89A7920 0000CE08
	s_waitcnt vmcnt(34)                                        // 0000000089D0: BF8C8F72
	v_mfma_scale_f32_16x16x128_f8f6f4 v[160:163], a[32:35], v[72:75], v[160:163], v27, v44 op_sel_hi:[0,0,0] cbsz:4 blgp:4// 0000000089D4: D3AC6000 0002591B D3AD0CA0 8E829120
	buffer_load_dwordx4 a[96:99], v60, s[12:15], 0 offen offset:2048// 0000000089E4: E05C1800 8083603C
	v_mfma_scale_f32_16x16x128_f8f6f4 v[164:167], a[32:35], v[88:91], v[164:167], v27, v44 op_sel_hi:[0,0,0] cbsz:4 blgp:4// 0000000089EC: D3AC7000 0002591B D3AD0CA4 8E92B120
	v_mfma_scale_f32_16x16x128_f8f6f4 v[168:171], a[36:39], v[72:75], v[168:171], v27, v44 op_sel_hi:[0,0,0] cbsz:4 blgp:4// 0000000089FC: D3AC6800 0002591B D3AD0CA8 8EA29124
	buffer_load_dwordx4 a[100:103], v61, s[12:15], 0 offen offset:2048// 000000008A0C: E05C1800 8083643D
	v_mfma_scale_f32_16x16x128_f8f6f4 v[172:175], a[36:39], v[88:91], v[172:175], v27, v44 op_sel_hi:[0,0,0] cbsz:4 blgp:4// 000000008A14: D3AC7800 0002591B D3AD0CAC 8EB2B124
	s_waitcnt vmcnt(34)                                        // 000000008A24: BF8C8F72
	v_mfma_scale_f32_16x16x128_f8f6f4 v[176:179], a[40:43], v[72:75], v[176:179], v28, v44 op_sel_hi:[0,0,0] cbsz:4 blgp:4// 000000008A28: D3AC6000 0002591C D3AD0CB0 8EC29128
	buffer_load_dwordx4 a[104:107], v62, s[12:15], 0 offen offset:2048// 000000008A38: E05C1800 8083683E
	v_mfma_scale_f32_16x16x128_f8f6f4 v[180:183], a[40:43], v[88:91], v[180:183], v28, v44 op_sel_hi:[0,0,0] cbsz:4 blgp:4// 000000008A40: D3AC7000 0002591C D3AD0CB4 8ED2B128
	v_mfma_scale_f32_16x16x128_f8f6f4 v[184:187], a[44:47], v[72:75], v[184:187], v28, v44 op_sel_hi:[0,0,0] cbsz:4 blgp:4// 000000008A50: D3AC6800 0002591C D3AD0CB8 8EE2912C
	buffer_load_dwordx4 a[108:111], v63, s[12:15], 0 offen offset:2048// 000000008A60: E05C1800 80836C3F
	v_mfma_scale_f32_16x16x128_f8f6f4 v[188:191], a[44:47], v[88:91], v[188:191], v28, v44 op_sel_hi:[0,0,0] cbsz:4 blgp:4// 000000008A68: D3AC7800 0002591C D3AD0CBC 8EF2B12C
	s_waitcnt vmcnt(34)                                        // 000000008A78: BF8C8F72
	v_mfma_scale_f32_16x16x128_f8f6f4 v[160:163], a[48:51], v[76:79], v[160:163], v27, v44 op_sel_hi:[0,0,0] cbsz:4 blgp:4// 000000008A7C: D3AC6000 1802591B D3AD0CA0 8E829930
	buffer_load_dwordx4 a[112:115], v60, s[12:15], 0 offen offset:3072// 000000008A8C: E05C1C00 8083703C
	v_mfma_scale_f32_16x16x128_f8f6f4 v[164:167], a[48:51], v[92:95], v[164:167], v27, v44 op_sel_hi:[0,0,0] cbsz:4 blgp:4// 000000008A94: D3AC7000 1802591B D3AD0CA4 8E92B930
	v_mfma_scale_f32_16x16x128_f8f6f4 v[168:171], a[52:55], v[76:79], v[168:171], v27, v44 op_sel_hi:[0,0,0] cbsz:4 blgp:4// 000000008AA4: D3AC6800 1802591B D3AD0CA8 8EA29934
	buffer_load_dwordx4 a[116:119], v61, s[12:15], 0 offen offset:3072// 000000008AB4: E05C1C00 8083743D
	v_mfma_scale_f32_16x16x128_f8f6f4 v[172:175], a[52:55], v[92:95], v[172:175], v27, v44 op_sel_hi:[0,0,0] cbsz:4 blgp:4// 000000008ABC: D3AC7800 1802591B D3AD0CAC 8EB2B934
	s_waitcnt vmcnt(34)                                        // 000000008ACC: BF8C8F72
	v_mfma_scale_f32_16x16x128_f8f6f4 v[176:179], a[56:59], v[76:79], v[176:179], v28, v44 op_sel_hi:[0,0,0] cbsz:4 blgp:4// 000000008AD0: D3AC6000 1802591C D3AD0CB0 8EC29938
	buffer_load_dwordx4 a[120:123], v62, s[12:15], 0 offen offset:3072// 000000008AE0: E05C1C00 8083783E
	v_mfma_scale_f32_16x16x128_f8f6f4 v[180:183], a[56:59], v[92:95], v[180:183], v28, v44 op_sel_hi:[0,0,0] cbsz:4 blgp:4// 000000008AE8: D3AC7000 1802591C D3AD0CB4 8ED2B938
	v_mfma_scale_f32_16x16x128_f8f6f4 v[184:187], a[60:63], v[76:79], v[184:187], v28, v44 op_sel_hi:[0,0,0] cbsz:4 blgp:4// 000000008AF8: D3AC6800 1802591C D3AD0CB8 8EE2993C
	buffer_load_dwordx4 a[124:127], v63, s[12:15], 0 offen offset:3072// 000000008B08: E05C1C00 80837C3F
	v_mfma_scale_f32_16x16x128_f8f6f4 v[188:191], a[60:63], v[92:95], v[188:191], v28, v44 op_sel_hi:[0,0,0] cbsz:4 blgp:4// 000000008B10: D3AC7800 1802591C D3AD0CBC 8EF2B93C
	s_add_u32 s60, 0x200, s80                                  // 000000008B20: 803C50FF 00000200
	s_cmp_lt_u32 s60, s81                                      // 000000008B28: BF0A513C
	s_cselect_b32 s56, s56, 0                                  // 000000008B2C: 85388038
	s_cselect_b32 s78, s78, 0                                  // 000000008B30: 854E804E
	s_cselect_b32 s79, s79, 0                                  // 000000008B34: 854F804F
	s_add_u32 s12, s56, s12                                    // 000000008B38: 800C0C38
	s_addc_u32 s13, 0, s13                                     // 000000008B3C: 820D0D80
	s_add_u32 s16, s79, s16                                    // 000000008B40: 8010104F
	s_addc_u32 s17, 0, s17                                     // 000000008B44: 82111180
	v_mov_b32_e32 v2, v41                                      // 000000008B48: 7E040329
	v_mov_b32_e32 v3, v41                                      // 000000008B4C: 7E060329
	v_pk_mul_f32 v[160:161], v[2:3], v[160:161]                // 000000008B50: D3B140A0 18034102
	v_pk_mul_f32 v[162:163], v[2:3], v[162:163]                // 000000008B58: D3B140A2 18034502
	v_pk_mul_f32 v[168:169], v[2:3], v[168:169]                // 000000008B60: D3B140A8 18035102
	v_pk_mul_f32 v[170:171], v[2:3], v[170:171]                // 000000008B68: D3B140AA 18035502
	v_pk_mul_f32 v[176:177], v[2:3], v[176:177]                // 000000008B70: D3B140B0 18036102
	v_pk_mul_f32 v[178:179], v[2:3], v[178:179]                // 000000008B78: D3B140B2 18036502
	v_pk_mul_f32 v[184:185], v[2:3], v[184:185]                // 000000008B80: D3B140B8 18037102
	v_pk_mul_f32 v[186:187], v[2:3], v[186:187]                // 000000008B88: D3B140BA 18037502
	v_mov_b32_e32 v2, v42                                      // 000000008B90: 7E04032A
	v_mov_b32_e32 v3, v42                                      // 000000008B94: 7E06032A
	v_pk_mul_f32 v[164:165], v[2:3], v[164:165]                // 000000008B98: D3B140A4 18034902
	v_pk_mul_f32 v[166:167], v[2:3], v[166:167]                // 000000008BA0: D3B140A6 18034D02
	v_pk_mul_f32 v[172:173], v[2:3], v[172:173]                // 000000008BA8: D3B140AC 18035902
	v_pk_mul_f32 v[174:175], v[2:3], v[174:175]                // 000000008BB0: D3B140AE 18035D02
	v_pk_mul_f32 v[180:181], v[2:3], v[180:181]                // 000000008BB8: D3B140B4 18036902
	v_pk_mul_f32 v[182:183], v[2:3], v[182:183]                // 000000008BC0: D3B140B6 18036D02
	v_pk_mul_f32 v[188:189], v[2:3], v[188:189]                // 000000008BC8: D3B140BC 18037902
	v_pk_mul_f32 v[190:191], v[2:3], v[190:191]                // 000000008BD0: D3B140BE 18037D02
	v_cvt_pk_bf16_f32 v160, v160, v161                         // 000000008BD8: D26800A0 000343A0
	v_cvt_pk_bf16_f32 v161, v162, v163                         // 000000008BE0: D26800A1 000347A2
	v_cvt_pk_bf16_f32 v162, v164, v165                         // 000000008BE8: D26800A2 00034BA4
	v_cvt_pk_bf16_f32 v163, v166, v167                         // 000000008BF0: D26800A3 00034FA6
	v_cvt_pk_bf16_f32 v164, v168, v169                         // 000000008BF8: D26800A4 000353A8
	v_cvt_pk_bf16_f32 v165, v170, v171                         // 000000008C00: D26800A5 000357AA
	v_cvt_pk_bf16_f32 v166, v172, v173                         // 000000008C08: D26800A6 00035BAC
	v_cvt_pk_bf16_f32 v167, v174, v175                         // 000000008C10: D26800A7 00035FAE
	v_cvt_pk_bf16_f32 v168, v176, v177                         // 000000008C18: D26800A8 000363B0
	v_cvt_pk_bf16_f32 v169, v178, v179                         // 000000008C20: D26800A9 000367B2
	v_cvt_pk_bf16_f32 v170, v180, v181                         // 000000008C28: D26800AA 00036BB4
	v_cvt_pk_bf16_f32 v171, v182, v183                         // 000000008C30: D26800AB 00036FB6
	v_cvt_pk_bf16_f32 v172, v184, v185                         // 000000008C38: D26800AC 000373B8
	v_cvt_pk_bf16_f32 v173, v186, v187                         // 000000008C40: D26800AD 000377BA
	v_cvt_pk_bf16_f32 v174, v188, v189                         // 000000008C48: D26800AE 00037BBC
	v_cvt_pk_bf16_f32 v175, v190, v191                         // 000000008C50: D26800AF 00037FBE
	s_cmp_ge_u32 s80, 0x200                                    // 000000008C58: BF09FF50 00000200
	s_cselect_b32 s59, 0x200, s59                              // 000000008C60: 853B3BFF 00000200
	s_mov_b64 exec, s[20:21]                                   // 000000008C68: BEFE0114
	global_atomic_pk_add_bf16 v144, v128, s[8:9]               // 000000008C6C: DD488000 00088090
	s_mov_b64 exec, s[36:37]                                   // 000000008C74: BEFE0124
	s_mov_b64 exec, s[20:21]                                   // 000000008C78: BEFE0114
	global_atomic_pk_add_bf16 v144, v129, s[8:9] offset:256    // 000000008C7C: DD488100 00088190
	s_mov_b64 exec, s[36:37]                                   // 000000008C84: BEFE0124
	s_mov_b64 exec, s[22:23]                                   // 000000008C88: BEFE0116
	global_atomic_pk_add_bf16 v146, v130, s[8:9]               // 000000008C8C: DD488000 00088292
	s_mov_b64 exec, s[36:37]                                   // 000000008C94: BEFE0124
	s_mov_b64 exec, s[22:23]                                   // 000000008C98: BEFE0116
	global_atomic_pk_add_bf16 v146, v131, s[8:9] offset:256    // 000000008C9C: DD488100 00088392
	s_mov_b64 exec, s[36:37]                                   // 000000008CA4: BEFE0124
	s_mov_b64 exec, s[24:25]                                   // 000000008CA8: BEFE0118
	global_atomic_pk_add_bf16 v148, v132, s[8:9]               // 000000008CAC: DD488000 00088494
	s_mov_b64 exec, s[36:37]                                   // 000000008CB4: BEFE0124
	s_mov_b64 exec, s[24:25]                                   // 000000008CB8: BEFE0118
	global_atomic_pk_add_bf16 v148, v133, s[8:9] offset:256    // 000000008CBC: DD488100 00088594
	s_mov_b64 exec, s[36:37]                                   // 000000008CC4: BEFE0124
	s_mov_b64 exec, s[26:27]                                   // 000000008CC8: BEFE011A
	global_atomic_pk_add_bf16 v150, v134, s[8:9]               // 000000008CCC: DD488000 00088696
	s_mov_b64 exec, s[36:37]                                   // 000000008CD4: BEFE0124
	s_mov_b64 exec, s[26:27]                                   // 000000008CD8: BEFE011A
	global_atomic_pk_add_bf16 v150, v135, s[8:9] offset:256    // 000000008CDC: DD488100 00088796
	s_mov_b64 exec, s[36:37]                                   // 000000008CE4: BEFE0124
	s_mov_b64 exec, s[28:29]                                   // 000000008CE8: BEFE011C
	global_atomic_pk_add_bf16 v152, v136, s[8:9]               // 000000008CEC: DD488000 00088898
	s_mov_b64 exec, s[36:37]                                   // 000000008CF4: BEFE0124
	s_mov_b64 exec, s[28:29]                                   // 000000008CF8: BEFE011C
	global_atomic_pk_add_bf16 v152, v137, s[8:9] offset:256    // 000000008CFC: DD488100 00088998
	s_mov_b64 exec, s[36:37]                                   // 000000008D04: BEFE0124
	s_mov_b64 exec, s[30:31]                                   // 000000008D08: BEFE011E
	global_atomic_pk_add_bf16 v154, v138, s[8:9]               // 000000008D0C: DD488000 00088A9A
	s_mov_b64 exec, s[36:37]                                   // 000000008D14: BEFE0124
	s_mov_b64 exec, s[30:31]                                   // 000000008D18: BEFE011E
	global_atomic_pk_add_bf16 v154, v139, s[8:9] offset:256    // 000000008D1C: DD488100 00088B9A
	s_mov_b64 exec, s[36:37]                                   // 000000008D24: BEFE0124
	s_mov_b64 exec, s[32:33]                                   // 000000008D28: BEFE0120
	global_atomic_pk_add_bf16 v156, v140, s[8:9]               // 000000008D2C: DD488000 00088C9C
	s_mov_b64 exec, s[36:37]                                   // 000000008D34: BEFE0124
	s_mov_b64 exec, s[32:33]                                   // 000000008D38: BEFE0120
	global_atomic_pk_add_bf16 v156, v141, s[8:9] offset:256    // 000000008D3C: DD488100 00088D9C
	s_mov_b64 exec, s[36:37]                                   // 000000008D44: BEFE0124
	s_mov_b64 exec, s[34:35]                                   // 000000008D48: BEFE0122
	global_atomic_pk_add_bf16 v158, v142, s[8:9]               // 000000008D4C: DD488000 00088E9E
	s_mov_b64 exec, s[36:37]                                   // 000000008D54: BEFE0124
	s_mov_b64 exec, s[34:35]                                   // 000000008D58: BEFE0122
	global_atomic_pk_add_bf16 v158, v143, s[8:9] offset:256    // 000000008D5C: DD488100 00088F9E
	s_mov_b64 exec, s[36:37]                                   // 000000008D64: BEFE0124
	s_add_u32 s8, s59, s8                                      // 000000008D68: 8008083B
	s_addc_u32 s9, 0, s9                                       // 000000008D6C: 82090980
	s_addk_i32 s80, 0x100                                      // 000000008D70: B7500100
	s_cmp_lt_i32 s80, s81                                      // 000000008D74: BF045150
	s_cbranch_scc0 label_0DF5                                  // 000000008D78: BF84F616
	s_waitcnt vmcnt(30) lgkmcnt(0)                             // 000000008D7C: BF8C407E
	s_barrier                                                  // 000000008D80: BF8A0000
	v_mfma_scale_f32_16x16x128_f8f6f4 v[192:195], a[64:67], v[64:67], 0, v29, v43 op_sel_hi:[0,0,0] cbsz:4 blgp:4// 000000008D84: D3AC6000 0002571D D3AD0CC0 8A028140
	buffer_load_dwordx4 a[0:3], v60, s[12:15], 0 offen         // 000000008D94: E05C1000 8083003C
	v_mfma_scale_f32_16x16x128_f8f6f4 v[196:199], a[64:67], v[80:83], 0, v29, v43 op_sel_hi:[0,0,0] cbsz:4 blgp:4// 000000008D9C: D3AC7000 0002571D D3AD0CC4 8A02A140
	ds_read_b32 v128, v9 offset:17408                          // 000000008DAC: D86C4400 80000009
	ds_read_b32 v129, v9 offset:21760                          // 000000008DB4: D86C5500 81000009
	ds_read_b32 v130, v9 offset:17416                          // 000000008DBC: D86C4408 82000009
	ds_read_b32 v131, v9 offset:21768                          // 000000008DC4: D86C5508 83000009
	v_mfma_scale_f32_16x16x128_f8f6f4 v[200:203], a[68:71], v[64:67], 0, v29, v43 op_sel_hi:[0,0,0] cbsz:4 blgp:4// 000000008DCC: D3AC6800 0002571D D3AD0CC8 8A028144
	buffer_load_dwordx4 a[4:7], v61, s[12:15], 0 offen         // 000000008DDC: E05C1000 8083043D
	buffer_load_dword v25, v10, s[16:19], 0 offen              // 000000008DE4: E0501000 8004190A
	buffer_load_dword v26, v11, s[16:19], 0 offen              // 000000008DEC: E0501000 80041A0B
	buffer_load_dword v27, v10, s[16:19], 0 offen offset:256   // 000000008DF4: E0501100 80041B0A
	buffer_load_dword v28, v11, s[16:19], 0 offen offset:256   // 000000008DFC: E0501100 80041C0B
	v_mfma_scale_f32_16x16x128_f8f6f4 v[204:207], a[68:71], v[80:83], 0, v29, v43 op_sel_hi:[0,0,0] cbsz:4 blgp:4// 000000008E04: D3AC7800 0002571D D3AD0CCC 8A02A144
	ds_read_b32 v132, v9 offset:17440                          // 000000008E14: D86C4420 84000009
	ds_read_b32 v133, v9 offset:21792                          // 000000008E1C: D86C5520 85000009
	ds_read_b32 v134, v9 offset:17448                          // 000000008E24: D86C4428 86000009
	ds_read_b32 v135, v9 offset:21800                          // 000000008E2C: D86C5528 87000009
	s_waitcnt vmcnt(34)                                        // 000000008E34: BF8C8F72
	v_mfma_scale_f32_16x16x128_f8f6f4 v[208:211], a[72:75], v[64:67], 0, v30, v43 op_sel_hi:[0,0,0] cbsz:4 blgp:4// 000000008E38: D3AC6000 0002571E D3AD0CD0 8A028148
	buffer_load_dwordx4 a[8:11], v62, s[12:15], 0 offen        // 000000008E48: E05C1000 8083083E
	v_mfma_scale_f32_16x16x128_f8f6f4 v[212:215], a[72:75], v[80:83], 0, v30, v43 op_sel_hi:[0,0,0] cbsz:4 blgp:4// 000000008E50: D3AC7000 0002571E D3AD0CD4 8A02A148
	ds_read_b32 v136, v9 offset:26112                          // 000000008E60: D86C6600 88000009
	ds_read_b32 v137, v9 offset:30464                          // 000000008E68: D86C7700 89000009
	ds_read_b32 v138, v9 offset:26120                          // 000000008E70: D86C6608 8A000009
	ds_read_b32 v139, v9 offset:30472                          // 000000008E78: D86C7708 8B000009
	v_mfma_scale_f32_16x16x128_f8f6f4 v[216:219], a[76:79], v[64:67], 0, v30, v43 op_sel_hi:[0,0,0] cbsz:4 blgp:4// 000000008E80: D3AC6800 0002571E D3AD0CD8 8A02814C
	buffer_load_dwordx4 a[12:15], v63, s[12:15], 0 offen       // 000000008E90: E05C1000 80830C3F
	buffer_load_dword v27, v10, s[16:19], 0 offen offset:256   // 000000008E98: E0501100 80041B0A
	buffer_load_dword v28, v11, s[16:19], 0 offen offset:256   // 000000008EA0: E0501100 80041C0B
	v_mfma_scale_f32_16x16x128_f8f6f4 v[220:223], a[76:79], v[80:83], 0, v30, v43 op_sel_hi:[0,0,0] cbsz:4 blgp:4// 000000008EA8: D3AC7800 0002571E D3AD0CDC 8A02A14C
	ds_read_b32 v140, v9 offset:26144                          // 000000008EB8: D86C6620 8C000009
	ds_read_b32 v141, v9 offset:30496                          // 000000008EC0: D86C7720 8D000009
	ds_read_b32 v142, v9 offset:26152                          // 000000008EC8: D86C6628 8E000009
	ds_read_b32 v143, v9 offset:30504                          // 000000008ED0: D86C7728 8F000009
	s_waitcnt vmcnt(34)                                        // 000000008ED8: BF8C8F72
	v_mfma_scale_f32_16x16x128_f8f6f4 v[192:195], a[80:83], v[68:71], v[192:195], v29, v43 op_sel_hi:[0,0,0] cbsz:4 blgp:4// 000000008EDC: D3AC6000 1802571D D3AD0CC0 8F028950
	buffer_load_dwordx4 a[16:19], v60, s[12:15], 0 offen offset:1024// 000000008EEC: E05C1400 8083103C
	v_mfma_scale_f32_16x16x128_f8f6f4 v[196:199], a[80:83], v[84:87], v[196:199], v29, v43 op_sel_hi:[0,0,0] cbsz:4 blgp:4// 000000008EF4: D3AC7000 1802571D D3AD0CC4 8F12A950
	ds_write_b64 v8, v[160:161]                                // 000000008F04: D89A0000 0000A008
	ds_write_b64 v8, v[162:163] offset:8704                    // 000000008F0C: D89A2200 0000A208
	v_mfma_scale_f32_16x16x128_f8f6f4 v[200:203], a[84:87], v[68:71], v[200:203], v29, v43 op_sel_hi:[0,0,0] cbsz:4 blgp:4// 000000008F14: D3AC6800 1802571D D3AD0CC8 8F228954
	buffer_load_dwordx4 a[20:23], v61, s[12:15], 0 offen offset:1024// 000000008F24: E05C1400 8083143D
	v_mfma_scale_f32_16x16x128_f8f6f4 v[204:207], a[84:87], v[84:87], v[204:207], v29, v43 op_sel_hi:[0,0,0] cbsz:4 blgp:4// 000000008F2C: D3AC7800 1802571D D3AD0CCC 8F32A954
	ds_write_b64 v8, v[164:165] offset:544                     // 000000008F3C: D89A0220 0000A408
	ds_write_b64 v8, v[166:167] offset:9248                    // 000000008F44: D89A2420 0000A608
	s_waitcnt vmcnt(34)                                        // 000000008F4C: BF8C8F72
	v_mfma_scale_f32_16x16x128_f8f6f4 v[208:211], a[88:91], v[68:71], v[208:211], v30, v43 op_sel_hi:[0,0,0] cbsz:4 blgp:4// 000000008F50: D3AC6000 1802571E D3AD0CD0 8F428958
	buffer_load_dwordx4 a[24:27], v62, s[12:15], 0 offen offset:1024// 000000008F60: E05C1400 8083183E
	v_mfma_scale_f32_16x16x128_f8f6f4 v[212:215], a[88:91], v[84:87], v[212:215], v30, v43 op_sel_hi:[0,0,0] cbsz:4 blgp:4// 000000008F68: D3AC7000 1802571E D3AD0CD4 8F52A958
	ds_write_b64 v8, v[168:169] offset:4352                    // 000000008F78: D89A1100 0000A808
	ds_write_b64 v8, v[170:171] offset:13056                   // 000000008F80: D89A3300 0000AA08
	v_mfma_scale_f32_16x16x128_f8f6f4 v[216:219], a[92:95], v[68:71], v[216:219], v30, v43 op_sel_hi:[0,0,0] cbsz:4 blgp:4// 000000008F88: D3AC6800 1802571E D3AD0CD8 8F62895C
	buffer_load_dwordx4 a[28:31], v63, s[12:15], 0 offen offset:1024// 000000008F98: E05C1400 80831C3F
	v_mfma_scale_f32_16x16x128_f8f6f4 v[220:223], a[92:95], v[84:87], v[220:223], v30, v43 op_sel_hi:[0,0,0] cbsz:4 blgp:4// 000000008FA0: D3AC7800 1802571E D3AD0CDC 8F72A95C
	ds_write_b64 v8, v[172:173] offset:4896                    // 000000008FB0: D89A1320 0000AC08
	ds_write_b64 v8, v[174:175] offset:13600                   // 000000008FB8: D89A3520 0000AE08
	s_waitcnt vmcnt(34)                                        // 000000008FC0: BF8C8F72
	v_mfma_scale_f32_16x16x128_f8f6f4 v[192:195], a[96:99], v[72:75], v[192:195], v31, v44 op_sel_hi:[0,0,0] cbsz:4 blgp:4// 000000008FC4: D3AC6000 0002591F D3AD0CC0 8F029160
	buffer_load_dwordx4 a[32:35], v60, s[12:15], 0 offen offset:2048// 000000008FD4: E05C1800 8083203C
	v_mfma_scale_f32_16x16x128_f8f6f4 v[196:199], a[96:99], v[88:91], v[196:199], v31, v44 op_sel_hi:[0,0,0] cbsz:4 blgp:4// 000000008FDC: D3AC7000 0002591F D3AD0CC4 8F12B160
	v_mfma_scale_f32_16x16x128_f8f6f4 v[200:203], a[100:103], v[72:75], v[200:203], v31, v44 op_sel_hi:[0,0,0] cbsz:4 blgp:4// 000000008FEC: D3AC6800 0002591F D3AD0CC8 8F229164
	buffer_load_dwordx4 a[36:39], v61, s[12:15], 0 offen offset:2048// 000000008FFC: E05C1800 8083243D
	v_mfma_scale_f32_16x16x128_f8f6f4 v[204:207], a[100:103], v[88:91], v[204:207], v31, v44 op_sel_hi:[0,0,0] cbsz:4 blgp:4// 000000009004: D3AC7800 0002591F D3AD0CCC 8F32B164
	s_waitcnt vmcnt(34)                                        // 000000009014: BF8C8F72
	v_mfma_scale_f32_16x16x128_f8f6f4 v[208:211], a[104:107], v[72:75], v[208:211], v32, v44 op_sel_hi:[0,0,0] cbsz:4 blgp:4// 000000009018: D3AC6000 00025920 D3AD0CD0 8F429168
	buffer_load_dwordx4 a[40:43], v62, s[12:15], 0 offen offset:2048// 000000009028: E05C1800 8083283E
	v_mfma_scale_f32_16x16x128_f8f6f4 v[212:215], a[104:107], v[88:91], v[212:215], v32, v44 op_sel_hi:[0,0,0] cbsz:4 blgp:4// 000000009030: D3AC7000 00025920 D3AD0CD4 8F52B168
	v_mfma_scale_f32_16x16x128_f8f6f4 v[216:219], a[108:111], v[72:75], v[216:219], v32, v44 op_sel_hi:[0,0,0] cbsz:4 blgp:4// 000000009040: D3AC6800 00025920 D3AD0CD8 8F62916C
	buffer_load_dwordx4 a[44:47], v63, s[12:15], 0 offen offset:2048// 000000009050: E05C1800 80832C3F
	v_mfma_scale_f32_16x16x128_f8f6f4 v[220:223], a[108:111], v[88:91], v[220:223], v32, v44 op_sel_hi:[0,0,0] cbsz:4 blgp:4// 000000009058: D3AC7800 00025920 D3AD0CDC 8F72B16C
	s_waitcnt vmcnt(34)                                        // 000000009068: BF8C8F72
	v_mfma_scale_f32_16x16x128_f8f6f4 v[192:195], a[112:115], v[76:79], v[192:195], v31, v44 op_sel_hi:[0,0,0] cbsz:4 blgp:4// 00000000906C: D3AC6000 1802591F D3AD0CC0 8F029970
	buffer_load_dwordx4 a[48:51], v60, s[12:15], 0 offen offset:3072// 00000000907C: E05C1C00 8083303C
	v_mfma_scale_f32_16x16x128_f8f6f4 v[196:199], a[112:115], v[92:95], v[196:199], v31, v44 op_sel_hi:[0,0,0] cbsz:4 blgp:4// 000000009084: D3AC7000 1802591F D3AD0CC4 8F12B970
	v_mfma_scale_f32_16x16x128_f8f6f4 v[200:203], a[116:119], v[76:79], v[200:203], v31, v44 op_sel_hi:[0,0,0] cbsz:4 blgp:4// 000000009094: D3AC6800 1802591F D3AD0CC8 8F229974
	buffer_load_dwordx4 a[52:55], v61, s[12:15], 0 offen offset:3072// 0000000090A4: E05C1C00 8083343D
	v_mfma_scale_f32_16x16x128_f8f6f4 v[204:207], a[116:119], v[92:95], v[204:207], v31, v44 op_sel_hi:[0,0,0] cbsz:4 blgp:4// 0000000090AC: D3AC7800 1802591F D3AD0CCC 8F32B974
	s_waitcnt vmcnt(34)                                        // 0000000090BC: BF8C8F72
	v_mfma_scale_f32_16x16x128_f8f6f4 v[208:211], a[120:123], v[76:79], v[208:211], v32, v44 op_sel_hi:[0,0,0] cbsz:4 blgp:4// 0000000090C0: D3AC6000 18025920 D3AD0CD0 8F429978
	buffer_load_dwordx4 a[56:59], v62, s[12:15], 0 offen offset:3072// 0000000090D0: E05C1C00 8083383E
	v_mfma_scale_f32_16x16x128_f8f6f4 v[212:215], a[120:123], v[92:95], v[212:215], v32, v44 op_sel_hi:[0,0,0] cbsz:4 blgp:4// 0000000090D8: D3AC7000 18025920 D3AD0CD4 8F52B978
	v_mfma_scale_f32_16x16x128_f8f6f4 v[216:219], a[124:127], v[76:79], v[216:219], v32, v44 op_sel_hi:[0,0,0] cbsz:4 blgp:4// 0000000090E8: D3AC6800 18025920 D3AD0CD8 8F62997C
	buffer_load_dwordx4 a[60:63], v63, s[12:15], 0 offen offset:3072// 0000000090F8: E05C1C00 80833C3F
	v_mfma_scale_f32_16x16x128_f8f6f4 v[220:223], a[124:127], v[92:95], v[220:223], v32, v44 op_sel_hi:[0,0,0] cbsz:4 blgp:4// 000000009100: D3AC7800 18025920 D3AD0CDC 8F72B97C
	s_add_u32 s60, 0x200, s80                                  // 000000009110: 803C50FF 00000200
	s_cmp_lt_u32 s60, s81                                      // 000000009118: BF0A513C
	s_cselect_b32 s56, s56, 0                                  // 00000000911C: 85388038
	s_cselect_b32 s78, s78, 0                                  // 000000009120: 854E804E
	s_cselect_b32 s79, s79, 0                                  // 000000009124: 854F804F
	s_add_u32 s12, s56, s12                                    // 000000009128: 800C0C38
	s_addc_u32 s13, 0, s13                                     // 00000000912C: 820D0D80
	s_add_u32 s16, s79, s16                                    // 000000009130: 8010104F
	s_addc_u32 s17, 0, s17                                     // 000000009134: 82111180
	v_mov_b32_e32 v2, v41                                      // 000000009138: 7E040329
	v_mov_b32_e32 v3, v41                                      // 00000000913C: 7E060329
	v_pk_mul_f32 v[192:193], v[2:3], v[192:193]                // 000000009140: D3B140C0 18038102
	v_pk_mul_f32 v[194:195], v[2:3], v[194:195]                // 000000009148: D3B140C2 18038502
	v_pk_mul_f32 v[200:201], v[2:3], v[200:201]                // 000000009150: D3B140C8 18039102
	v_pk_mul_f32 v[202:203], v[2:3], v[202:203]                // 000000009158: D3B140CA 18039502
	v_pk_mul_f32 v[208:209], v[2:3], v[208:209]                // 000000009160: D3B140D0 1803A102
	v_pk_mul_f32 v[210:211], v[2:3], v[210:211]                // 000000009168: D3B140D2 1803A502
	v_pk_mul_f32 v[216:217], v[2:3], v[216:217]                // 000000009170: D3B140D8 1803B102
	v_pk_mul_f32 v[218:219], v[2:3], v[218:219]                // 000000009178: D3B140DA 1803B502
	v_mov_b32_e32 v2, v42                                      // 000000009180: 7E04032A
	v_mov_b32_e32 v3, v42                                      // 000000009184: 7E06032A
	v_pk_mul_f32 v[196:197], v[2:3], v[196:197]                // 000000009188: D3B140C4 18038902
	v_pk_mul_f32 v[198:199], v[2:3], v[198:199]                // 000000009190: D3B140C6 18038D02
	v_pk_mul_f32 v[204:205], v[2:3], v[204:205]                // 000000009198: D3B140CC 18039902
	v_pk_mul_f32 v[206:207], v[2:3], v[206:207]                // 0000000091A0: D3B140CE 18039D02
	v_pk_mul_f32 v[212:213], v[2:3], v[212:213]                // 0000000091A8: D3B140D4 1803A902
	v_pk_mul_f32 v[214:215], v[2:3], v[214:215]                // 0000000091B0: D3B140D6 1803AD02
	v_pk_mul_f32 v[220:221], v[2:3], v[220:221]                // 0000000091B8: D3B140DC 1803B902
	v_pk_mul_f32 v[222:223], v[2:3], v[222:223]                // 0000000091C0: D3B140DE 1803BD02
	v_cvt_pk_bf16_f32 v192, v192, v193                         // 0000000091C8: D26800C0 000383C0
	v_cvt_pk_bf16_f32 v193, v194, v195                         // 0000000091D0: D26800C1 000387C2
	v_cvt_pk_bf16_f32 v194, v196, v197                         // 0000000091D8: D26800C2 00038BC4
	v_cvt_pk_bf16_f32 v195, v198, v199                         // 0000000091E0: D26800C3 00038FC6
	v_cvt_pk_bf16_f32 v196, v200, v201                         // 0000000091E8: D26800C4 000393C8
	v_cvt_pk_bf16_f32 v197, v202, v203                         // 0000000091F0: D26800C5 000397CA
	v_cvt_pk_bf16_f32 v198, v204, v205                         // 0000000091F8: D26800C6 00039BCC
	v_cvt_pk_bf16_f32 v199, v206, v207                         // 000000009200: D26800C7 00039FCE
	v_cvt_pk_bf16_f32 v200, v208, v209                         // 000000009208: D26800C8 0003A3D0
	v_cvt_pk_bf16_f32 v201, v210, v211                         // 000000009210: D26800C9 0003A7D2
	v_cvt_pk_bf16_f32 v202, v212, v213                         // 000000009218: D26800CA 0003ABD4
	v_cvt_pk_bf16_f32 v203, v214, v215                         // 000000009220: D26800CB 0003AFD6
	v_cvt_pk_bf16_f32 v204, v216, v217                         // 000000009228: D26800CC 0003B3D8
	v_cvt_pk_bf16_f32 v205, v218, v219                         // 000000009230: D26800CD 0003B7DA
	v_cvt_pk_bf16_f32 v206, v220, v221                         // 000000009238: D26800CE 0003BBDC
	v_cvt_pk_bf16_f32 v207, v222, v223                         // 000000009240: D26800CF 0003BFDE
	s_cmp_ge_u32 s80, 0x200                                    // 000000009248: BF09FF50 00000200
	s_cselect_b32 s59, 0x200, s59                              // 000000009250: 853B3BFF 00000200
	s_mov_b64 exec, s[20:21]                                   // 000000009258: BEFE0114
	global_atomic_pk_add_bf16 v144, v128, s[8:9]               // 00000000925C: DD488000 00088090
	s_mov_b64 exec, s[36:37]                                   // 000000009264: BEFE0124
	s_mov_b64 exec, s[20:21]                                   // 000000009268: BEFE0114
	global_atomic_pk_add_bf16 v144, v129, s[8:9] offset:256    // 00000000926C: DD488100 00088190
	s_mov_b64 exec, s[36:37]                                   // 000000009274: BEFE0124
	s_mov_b64 exec, s[22:23]                                   // 000000009278: BEFE0116
	global_atomic_pk_add_bf16 v146, v130, s[8:9]               // 00000000927C: DD488000 00088292
	s_mov_b64 exec, s[36:37]                                   // 000000009284: BEFE0124
	s_mov_b64 exec, s[22:23]                                   // 000000009288: BEFE0116
	global_atomic_pk_add_bf16 v146, v131, s[8:9] offset:256    // 00000000928C: DD488100 00088392
	s_mov_b64 exec, s[36:37]                                   // 000000009294: BEFE0124
	s_mov_b64 exec, s[24:25]                                   // 000000009298: BEFE0118
	global_atomic_pk_add_bf16 v148, v132, s[8:9]               // 00000000929C: DD488000 00088494
	s_mov_b64 exec, s[36:37]                                   // 0000000092A4: BEFE0124
	s_mov_b64 exec, s[24:25]                                   // 0000000092A8: BEFE0118
	global_atomic_pk_add_bf16 v148, v133, s[8:9] offset:256    // 0000000092AC: DD488100 00088594
	s_mov_b64 exec, s[36:37]                                   // 0000000092B4: BEFE0124
	s_mov_b64 exec, s[26:27]                                   // 0000000092B8: BEFE011A
	global_atomic_pk_add_bf16 v150, v134, s[8:9]               // 0000000092BC: DD488000 00088696
	s_mov_b64 exec, s[36:37]                                   // 0000000092C4: BEFE0124
	s_mov_b64 exec, s[26:27]                                   // 0000000092C8: BEFE011A
	global_atomic_pk_add_bf16 v150, v135, s[8:9] offset:256    // 0000000092CC: DD488100 00088796
	s_mov_b64 exec, s[36:37]                                   // 0000000092D4: BEFE0124
	s_mov_b64 exec, s[28:29]                                   // 0000000092D8: BEFE011C
	global_atomic_pk_add_bf16 v152, v136, s[8:9]               // 0000000092DC: DD488000 00088898
	s_mov_b64 exec, s[36:37]                                   // 0000000092E4: BEFE0124
	s_mov_b64 exec, s[28:29]                                   // 0000000092E8: BEFE011C
	global_atomic_pk_add_bf16 v152, v137, s[8:9] offset:256    // 0000000092EC: DD488100 00088998
	s_mov_b64 exec, s[36:37]                                   // 0000000092F4: BEFE0124
	s_mov_b64 exec, s[30:31]                                   // 0000000092F8: BEFE011E
	global_atomic_pk_add_bf16 v154, v138, s[8:9]               // 0000000092FC: DD488000 00088A9A
	s_mov_b64 exec, s[36:37]                                   // 000000009304: BEFE0124
	s_mov_b64 exec, s[30:31]                                   // 000000009308: BEFE011E
	global_atomic_pk_add_bf16 v154, v139, s[8:9] offset:256    // 00000000930C: DD488100 00088B9A
	s_mov_b64 exec, s[36:37]                                   // 000000009314: BEFE0124
	s_mov_b64 exec, s[32:33]                                   // 000000009318: BEFE0120
	global_atomic_pk_add_bf16 v156, v140, s[8:9]               // 00000000931C: DD488000 00088C9C
	s_mov_b64 exec, s[36:37]                                   // 000000009324: BEFE0124
	s_mov_b64 exec, s[32:33]                                   // 000000009328: BEFE0120
	global_atomic_pk_add_bf16 v156, v141, s[8:9] offset:256    // 00000000932C: DD488100 00088D9C
	s_mov_b64 exec, s[36:37]                                   // 000000009334: BEFE0124
	s_mov_b64 exec, s[34:35]                                   // 000000009338: BEFE0122
	global_atomic_pk_add_bf16 v158, v142, s[8:9]               // 00000000933C: DD488000 00088E9E
	s_mov_b64 exec, s[36:37]                                   // 000000009344: BEFE0124
	s_mov_b64 exec, s[34:35]                                   // 000000009348: BEFE0122
	global_atomic_pk_add_bf16 v158, v143, s[8:9] offset:256    // 00000000934C: DD488100 00088F9E
	s_mov_b64 exec, s[36:37]                                   // 000000009354: BEFE0124
	s_add_u32 s8, s59, s8                                      // 000000009358: 8008083B
	s_addc_u32 s9, 0, s9                                       // 00000000935C: 82090980
	s_addk_i32 s80, 0x100                                      // 000000009360: B7500100
	s_cmp_lt_i32 s80, s81                                      // 000000009364: BF045150
	s_cbranch_scc0 label_0DF5                                  // 000000009368: BF84F49A
	s_branch label_1663                                        // 00000000936C: BF82FD07

0000000000009370 <label_195C>:
	s_cmp_ge_u32 s59, 0                                        // 000000009370: BF09803B
	s_cselect_b32 s59, 0x200, s59                              // 000000009374: 853B3BFF 00000200
	s_waitcnt lgkmcnt(0)                                       // 00000000937C: BF8CC07F
	s_barrier                                                  // 000000009380: BF8A0000
	s_cmp_eq_u32 s64, 0x100                                    // 000000009384: BF06FF40 00000100
	s_cbranch_scc0 label_19D8                                  // 00000000938C: BF840074
	ds_write_b64 v8, v[160:161]                                // 000000009390: D89A0000 0000A008
	ds_write_b64 v8, v[162:163] offset:8704                    // 000000009398: D89A2200 0000A208
	ds_write_b64 v8, v[164:165] offset:544                     // 0000000093A0: D89A0220 0000A408
	ds_write_b64 v8, v[166:167] offset:9248                    // 0000000093A8: D89A2420 0000A608
	ds_write_b64 v8, v[168:169] offset:4352                    // 0000000093B0: D89A1100 0000A808
	ds_write_b64 v8, v[170:171] offset:13056                   // 0000000093B8: D89A3300 0000AA08
	ds_write_b64 v8, v[172:173] offset:4896                    // 0000000093C0: D89A1320 0000AC08
	ds_write_b64 v8, v[174:175] offset:13600                   // 0000000093C8: D89A3520 0000AE08
	s_waitcnt lgkmcnt(0)                                       // 0000000093D0: BF8CC07F
	s_barrier                                                  // 0000000093D4: BF8A0000
	ds_read_b32 v128, v9                                       // 0000000093D8: D86C0000 80000009
	ds_read_b32 v129, v9 offset:4352                           // 0000000093E0: D86C1100 81000009
	ds_read_b32 v130, v9 offset:8                              // 0000000093E8: D86C0008 82000009
	ds_read_b32 v131, v9 offset:4360                           // 0000000093F0: D86C1108 83000009
	ds_read_b32 v132, v9 offset:32                             // 0000000093F8: D86C0020 84000009
	ds_read_b32 v133, v9 offset:4384                           // 000000009400: D86C1120 85000009
	ds_read_b32 v134, v9 offset:40                             // 000000009408: D86C0028 86000009
	ds_read_b32 v135, v9 offset:4392                           // 000000009410: D86C1128 87000009
	ds_read_b32 v136, v9 offset:8704                           // 000000009418: D86C2200 88000009
	ds_read_b32 v137, v9 offset:13056                          // 000000009420: D86C3300 89000009
	ds_read_b32 v138, v9 offset:8712                           // 000000009428: D86C2208 8A000009
	ds_read_b32 v139, v9 offset:13064                          // 000000009430: D86C3308 8B000009
	ds_read_b32 v140, v9 offset:8736                           // 000000009438: D86C2220 8C000009
	ds_read_b32 v141, v9 offset:13088                          // 000000009440: D86C3320 8D000009
	ds_read_b32 v142, v9 offset:8744                           // 000000009448: D86C2228 8E000009
	ds_read_b32 v143, v9 offset:13096                          // 000000009450: D86C3328 8F000009
	s_waitcnt lgkmcnt(0)                                       // 000000009458: BF8CC07F
	s_mov_b64 exec, s[20:21]                                   // 00000000945C: BEFE0114
	global_atomic_pk_add_bf16 v144, v128, s[8:9]               // 000000009460: DD488000 00088090
	s_mov_b64 exec, s[36:37]                                   // 000000009468: BEFE0124
	s_mov_b64 exec, s[20:21]                                   // 00000000946C: BEFE0114
	global_atomic_pk_add_bf16 v144, v129, s[8:9] offset:256    // 000000009470: DD488100 00088190
	s_mov_b64 exec, s[36:37]                                   // 000000009478: BEFE0124
	s_mov_b64 exec, s[22:23]                                   // 00000000947C: BEFE0116
	global_atomic_pk_add_bf16 v146, v130, s[8:9]               // 000000009480: DD488000 00088292
	s_mov_b64 exec, s[36:37]                                   // 000000009488: BEFE0124
	s_mov_b64 exec, s[22:23]                                   // 00000000948C: BEFE0116
	global_atomic_pk_add_bf16 v146, v131, s[8:9] offset:256    // 000000009490: DD488100 00088392
	s_mov_b64 exec, s[36:37]                                   // 000000009498: BEFE0124
	s_mov_b64 exec, s[24:25]                                   // 00000000949C: BEFE0118
	global_atomic_pk_add_bf16 v148, v132, s[8:9]               // 0000000094A0: DD488000 00088494
	s_mov_b64 exec, s[36:37]                                   // 0000000094A8: BEFE0124
	s_mov_b64 exec, s[24:25]                                   // 0000000094AC: BEFE0118
	global_atomic_pk_add_bf16 v148, v133, s[8:9] offset:256    // 0000000094B0: DD488100 00088594
	s_mov_b64 exec, s[36:37]                                   // 0000000094B8: BEFE0124
	s_mov_b64 exec, s[26:27]                                   // 0000000094BC: BEFE011A
	global_atomic_pk_add_bf16 v150, v134, s[8:9]               // 0000000094C0: DD488000 00088696
	s_mov_b64 exec, s[36:37]                                   // 0000000094C8: BEFE0124
	s_mov_b64 exec, s[26:27]                                   // 0000000094CC: BEFE011A
	global_atomic_pk_add_bf16 v150, v135, s[8:9] offset:256    // 0000000094D0: DD488100 00088796
	s_mov_b64 exec, s[36:37]                                   // 0000000094D8: BEFE0124
	s_mov_b64 exec, s[28:29]                                   // 0000000094DC: BEFE011C
	global_atomic_pk_add_bf16 v152, v136, s[8:9]               // 0000000094E0: DD488000 00088898
	s_mov_b64 exec, s[36:37]                                   // 0000000094E8: BEFE0124
	s_mov_b64 exec, s[28:29]                                   // 0000000094EC: BEFE011C
	global_atomic_pk_add_bf16 v152, v137, s[8:9] offset:256    // 0000000094F0: DD488100 00088998
	s_mov_b64 exec, s[36:37]                                   // 0000000094F8: BEFE0124
	s_mov_b64 exec, s[30:31]                                   // 0000000094FC: BEFE011E
	global_atomic_pk_add_bf16 v154, v138, s[8:9]               // 000000009500: DD488000 00088A9A
	s_mov_b64 exec, s[36:37]                                   // 000000009508: BEFE0124
	s_mov_b64 exec, s[30:31]                                   // 00000000950C: BEFE011E
	global_atomic_pk_add_bf16 v154, v139, s[8:9] offset:256    // 000000009510: DD488100 00088B9A
	s_mov_b64 exec, s[36:37]                                   // 000000009518: BEFE0124
	s_mov_b64 exec, s[32:33]                                   // 00000000951C: BEFE0120
	global_atomic_pk_add_bf16 v156, v140, s[8:9]               // 000000009520: DD488000 00088C9C
	s_mov_b64 exec, s[36:37]                                   // 000000009528: BEFE0124
	s_mov_b64 exec, s[32:33]                                   // 00000000952C: BEFE0120
	global_atomic_pk_add_bf16 v156, v141, s[8:9] offset:256    // 000000009530: DD488100 00088D9C
	s_mov_b64 exec, s[36:37]                                   // 000000009538: BEFE0124
	s_mov_b64 exec, s[34:35]                                   // 00000000953C: BEFE0122
	global_atomic_pk_add_bf16 v158, v142, s[8:9]               // 000000009540: DD488000 00088E9E
	s_mov_b64 exec, s[36:37]                                   // 000000009548: BEFE0124
	s_mov_b64 exec, s[34:35]                                   // 00000000954C: BEFE0122
	global_atomic_pk_add_bf16 v158, v143, s[8:9] offset:256    // 000000009550: DD488100 00088F9E
	s_mov_b64 exec, s[36:37]                                   // 000000009558: BEFE0124
	s_branch label_1AAE                                        // 00000000955C: BF8200D6

0000000000009560 <label_19D8>:
	ds_read_b32 v128, v9                                       // 000000009560: D86C0000 80000009
	ds_read_b32 v129, v9 offset:4352                           // 000000009568: D86C1100 81000009
	ds_read_b32 v130, v9 offset:8                              // 000000009570: D86C0008 82000009
	ds_read_b32 v131, v9 offset:4360                           // 000000009578: D86C1108 83000009
	ds_read_b32 v132, v9 offset:32                             // 000000009580: D86C0020 84000009
	ds_read_b32 v133, v9 offset:4384                           // 000000009588: D86C1120 85000009
	ds_read_b32 v134, v9 offset:40                             // 000000009590: D86C0028 86000009
	ds_read_b32 v135, v9 offset:4392                           // 000000009598: D86C1128 87000009
	ds_read_b32 v136, v9 offset:8704                           // 0000000095A0: D86C2200 88000009
	ds_read_b32 v137, v9 offset:13056                          // 0000000095A8: D86C3300 89000009
	ds_read_b32 v138, v9 offset:8712                           // 0000000095B0: D86C2208 8A000009
	ds_read_b32 v139, v9 offset:13064                          // 0000000095B8: D86C3308 8B000009
	ds_read_b32 v140, v9 offset:8736                           // 0000000095C0: D86C2220 8C000009
	ds_read_b32 v141, v9 offset:13088                          // 0000000095C8: D86C3320 8D000009
	ds_read_b32 v142, v9 offset:8744                           // 0000000095D0: D86C2228 8E000009
	ds_read_b32 v143, v9 offset:13096                          // 0000000095D8: D86C3328 8F000009
	s_waitcnt lgkmcnt(0)                                       // 0000000095E0: BF8CC07F
	s_mov_b64 exec, s[20:21]                                   // 0000000095E4: BEFE0114
	global_atomic_pk_add_bf16 v144, v128, s[8:9]               // 0000000095E8: DD488000 00088090
	s_mov_b64 exec, s[36:37]                                   // 0000000095F0: BEFE0124
	s_mov_b64 exec, s[20:21]                                   // 0000000095F4: BEFE0114
	global_atomic_pk_add_bf16 v144, v129, s[8:9] offset:256    // 0000000095F8: DD488100 00088190
	s_mov_b64 exec, s[36:37]                                   // 000000009600: BEFE0124
	s_mov_b64 exec, s[22:23]                                   // 000000009604: BEFE0116
	global_atomic_pk_add_bf16 v146, v130, s[8:9]               // 000000009608: DD488000 00088292
	s_mov_b64 exec, s[36:37]                                   // 000000009610: BEFE0124
	s_mov_b64 exec, s[22:23]                                   // 000000009614: BEFE0116
	global_atomic_pk_add_bf16 v146, v131, s[8:9] offset:256    // 000000009618: DD488100 00088392
	s_mov_b64 exec, s[36:37]                                   // 000000009620: BEFE0124
	s_mov_b64 exec, s[24:25]                                   // 000000009624: BEFE0118
	global_atomic_pk_add_bf16 v148, v132, s[8:9]               // 000000009628: DD488000 00088494
	s_mov_b64 exec, s[36:37]                                   // 000000009630: BEFE0124
	s_mov_b64 exec, s[24:25]                                   // 000000009634: BEFE0118
	global_atomic_pk_add_bf16 v148, v133, s[8:9] offset:256    // 000000009638: DD488100 00088594
	s_mov_b64 exec, s[36:37]                                   // 000000009640: BEFE0124
	s_mov_b64 exec, s[26:27]                                   // 000000009644: BEFE011A
	global_atomic_pk_add_bf16 v150, v134, s[8:9]               // 000000009648: DD488000 00088696
	s_mov_b64 exec, s[36:37]                                   // 000000009650: BEFE0124
	s_mov_b64 exec, s[26:27]                                   // 000000009654: BEFE011A
	global_atomic_pk_add_bf16 v150, v135, s[8:9] offset:256    // 000000009658: DD488100 00088796
	s_mov_b64 exec, s[36:37]                                   // 000000009660: BEFE0124
	s_mov_b64 exec, s[28:29]                                   // 000000009664: BEFE011C
	global_atomic_pk_add_bf16 v152, v136, s[8:9]               // 000000009668: DD488000 00088898
	s_mov_b64 exec, s[36:37]                                   // 000000009670: BEFE0124
	s_mov_b64 exec, s[28:29]                                   // 000000009674: BEFE011C
	global_atomic_pk_add_bf16 v152, v137, s[8:9] offset:256    // 000000009678: DD488100 00088998
	s_mov_b64 exec, s[36:37]                                   // 000000009680: BEFE0124
	s_mov_b64 exec, s[30:31]                                   // 000000009684: BEFE011E
	global_atomic_pk_add_bf16 v154, v138, s[8:9]               // 000000009688: DD488000 00088A9A
	s_mov_b64 exec, s[36:37]                                   // 000000009690: BEFE0124
	s_mov_b64 exec, s[30:31]                                   // 000000009694: BEFE011E
	global_atomic_pk_add_bf16 v154, v139, s[8:9] offset:256    // 000000009698: DD488100 00088B9A
	s_mov_b64 exec, s[36:37]                                   // 0000000096A0: BEFE0124
	s_mov_b64 exec, s[32:33]                                   // 0000000096A4: BEFE0120
	global_atomic_pk_add_bf16 v156, v140, s[8:9]               // 0000000096A8: DD488000 00088C9C
	s_mov_b64 exec, s[36:37]                                   // 0000000096B0: BEFE0124
	s_mov_b64 exec, s[32:33]                                   // 0000000096B4: BEFE0120
	global_atomic_pk_add_bf16 v156, v141, s[8:9] offset:256    // 0000000096B8: DD488100 00088D9C
	s_mov_b64 exec, s[36:37]                                   // 0000000096C0: BEFE0124
	s_mov_b64 exec, s[34:35]                                   // 0000000096C4: BEFE0122
	global_atomic_pk_add_bf16 v158, v142, s[8:9]               // 0000000096C8: DD488000 00088E9E
	s_mov_b64 exec, s[36:37]                                   // 0000000096D0: BEFE0124
	s_mov_b64 exec, s[34:35]                                   // 0000000096D4: BEFE0122
	global_atomic_pk_add_bf16 v158, v143, s[8:9] offset:256    // 0000000096D8: DD488100 00088F9E
	s_mov_b64 exec, s[36:37]                                   // 0000000096E0: BEFE0124
	s_add_u32 s8, s59, s8                                      // 0000000096E4: 8008083B
	s_addc_u32 s9, 0, s9                                       // 0000000096E8: 82090980
	ds_write_b64 v8, v[192:193] offset:17408                   // 0000000096EC: D89A4400 0000C008
	ds_write_b64 v8, v[194:195] offset:26112                   // 0000000096F4: D89A6600 0000C208
	ds_write_b64 v8, v[196:197] offset:17952                   // 0000000096FC: D89A4620 0000C408
	ds_write_b64 v8, v[198:199] offset:26656                   // 000000009704: D89A6820 0000C608
	ds_write_b64 v8, v[200:201] offset:21760                   // 00000000970C: D89A5500 0000C808
	ds_write_b64 v8, v[202:203] offset:30464                   // 000000009714: D89A7700 0000CA08
	ds_write_b64 v8, v[204:205] offset:22304                   // 00000000971C: D89A5720 0000CC08
	ds_write_b64 v8, v[206:207] offset:31008                   // 000000009724: D89A7920 0000CE08
	s_waitcnt lgkmcnt(0)                                       // 00000000972C: BF8CC07F
	s_barrier                                                  // 000000009730: BF8A0000
	ds_read_b32 v128, v9 offset:17408                          // 000000009734: D86C4400 80000009
	ds_read_b32 v129, v9 offset:21760                          // 00000000973C: D86C5500 81000009
	ds_read_b32 v130, v9 offset:17416                          // 000000009744: D86C4408 82000009
	ds_read_b32 v131, v9 offset:21768                          // 00000000974C: D86C5508 83000009
	ds_read_b32 v132, v9 offset:17440                          // 000000009754: D86C4420 84000009
	ds_read_b32 v133, v9 offset:21792                          // 00000000975C: D86C5520 85000009
	ds_read_b32 v134, v9 offset:17448                          // 000000009764: D86C4428 86000009
	ds_read_b32 v135, v9 offset:21800                          // 00000000976C: D86C5528 87000009
	ds_read_b32 v136, v9 offset:26112                          // 000000009774: D86C6600 88000009
	ds_read_b32 v137, v9 offset:30464                          // 00000000977C: D86C7700 89000009
	ds_read_b32 v138, v9 offset:26120                          // 000000009784: D86C6608 8A000009
	ds_read_b32 v139, v9 offset:30472                          // 00000000978C: D86C7708 8B000009
	ds_read_b32 v140, v9 offset:26144                          // 000000009794: D86C6620 8C000009
	ds_read_b32 v141, v9 offset:30496                          // 00000000979C: D86C7720 8D000009
	ds_read_b32 v142, v9 offset:26152                          // 0000000097A4: D86C6628 8E000009
	ds_read_b32 v143, v9 offset:30504                          // 0000000097AC: D86C7728 8F000009
	s_waitcnt lgkmcnt(0)                                       // 0000000097B4: BF8CC07F
	s_mov_b64 exec, s[20:21]                                   // 0000000097B8: BEFE0114
	global_atomic_pk_add_bf16 v144, v128, s[8:9]               // 0000000097BC: DD488000 00088090
	s_mov_b64 exec, s[36:37]                                   // 0000000097C4: BEFE0124
	s_mov_b64 exec, s[20:21]                                   // 0000000097C8: BEFE0114
	global_atomic_pk_add_bf16 v144, v129, s[8:9] offset:256    // 0000000097CC: DD488100 00088190
	s_mov_b64 exec, s[36:37]                                   // 0000000097D4: BEFE0124
	s_mov_b64 exec, s[22:23]                                   // 0000000097D8: BEFE0116
	global_atomic_pk_add_bf16 v146, v130, s[8:9]               // 0000000097DC: DD488000 00088292
	s_mov_b64 exec, s[36:37]                                   // 0000000097E4: BEFE0124
	s_mov_b64 exec, s[22:23]                                   // 0000000097E8: BEFE0116
	global_atomic_pk_add_bf16 v146, v131, s[8:9] offset:256    // 0000000097EC: DD488100 00088392
	s_mov_b64 exec, s[36:37]                                   // 0000000097F4: BEFE0124
	s_mov_b64 exec, s[24:25]                                   // 0000000097F8: BEFE0118
	global_atomic_pk_add_bf16 v148, v132, s[8:9]               // 0000000097FC: DD488000 00088494
	s_mov_b64 exec, s[36:37]                                   // 000000009804: BEFE0124
	s_mov_b64 exec, s[24:25]                                   // 000000009808: BEFE0118
	global_atomic_pk_add_bf16 v148, v133, s[8:9] offset:256    // 00000000980C: DD488100 00088594
	s_mov_b64 exec, s[36:37]                                   // 000000009814: BEFE0124
	s_mov_b64 exec, s[26:27]                                   // 000000009818: BEFE011A
	global_atomic_pk_add_bf16 v150, v134, s[8:9]               // 00000000981C: DD488000 00088696
	s_mov_b64 exec, s[36:37]                                   // 000000009824: BEFE0124
	s_mov_b64 exec, s[26:27]                                   // 000000009828: BEFE011A
	global_atomic_pk_add_bf16 v150, v135, s[8:9] offset:256    // 00000000982C: DD488100 00088796
	s_mov_b64 exec, s[36:37]                                   // 000000009834: BEFE0124
	s_mov_b64 exec, s[28:29]                                   // 000000009838: BEFE011C
	global_atomic_pk_add_bf16 v152, v136, s[8:9]               // 00000000983C: DD488000 00088898
	s_mov_b64 exec, s[36:37]                                   // 000000009844: BEFE0124
	s_mov_b64 exec, s[28:29]                                   // 000000009848: BEFE011C
	global_atomic_pk_add_bf16 v152, v137, s[8:9] offset:256    // 00000000984C: DD488100 00088998
	s_mov_b64 exec, s[36:37]                                   // 000000009854: BEFE0124
	s_mov_b64 exec, s[30:31]                                   // 000000009858: BEFE011E
	global_atomic_pk_add_bf16 v154, v138, s[8:9]               // 00000000985C: DD488000 00088A9A
	s_mov_b64 exec, s[36:37]                                   // 000000009864: BEFE0124
	s_mov_b64 exec, s[30:31]                                   // 000000009868: BEFE011E
	global_atomic_pk_add_bf16 v154, v139, s[8:9] offset:256    // 00000000986C: DD488100 00088B9A
	s_mov_b64 exec, s[36:37]                                   // 000000009874: BEFE0124
	s_mov_b64 exec, s[32:33]                                   // 000000009878: BEFE0120
	global_atomic_pk_add_bf16 v156, v140, s[8:9]               // 00000000987C: DD488000 00088C9C
	s_mov_b64 exec, s[36:37]                                   // 000000009884: BEFE0124
	s_mov_b64 exec, s[32:33]                                   // 000000009888: BEFE0120
	global_atomic_pk_add_bf16 v156, v141, s[8:9] offset:256    // 00000000988C: DD488100 00088D9C
	s_mov_b64 exec, s[36:37]                                   // 000000009894: BEFE0124
	s_mov_b64 exec, s[34:35]                                   // 000000009898: BEFE0122
	global_atomic_pk_add_bf16 v158, v142, s[8:9]               // 00000000989C: DD488000 00088E9E
	s_mov_b64 exec, s[36:37]                                   // 0000000098A4: BEFE0124
	s_mov_b64 exec, s[34:35]                                   // 0000000098A8: BEFE0122
	global_atomic_pk_add_bf16 v158, v143, s[8:9] offset:256    // 0000000098AC: DD488100 00088F9E
	s_mov_b64 exec, s[36:37]                                   // 0000000098B4: BEFE0124

00000000000098b8 <label_1AAE>:
	s_waitcnt vmcnt(0) expcnt(0) lgkmcnt(0)                    // 0000000098B8: BF8C0000
	s_endpgm                                                   // 0000000098BC: BF810000
